;; amdgpu-corpus repo=ROCm/rocFFT kind=compiled arch=gfx1201 opt=O3
	.text
	.amdgcn_target "amdgcn-amd-amdhsa--gfx1201"
	.amdhsa_code_object_version 6
	.protected	fft_rtc_back_len1200_factors_5_5_16_3_wgs_225_tpt_75_halfLds_sp_ip_CI_unitstride_sbrr_C2R_dirReg ; -- Begin function fft_rtc_back_len1200_factors_5_5_16_3_wgs_225_tpt_75_halfLds_sp_ip_CI_unitstride_sbrr_C2R_dirReg
	.globl	fft_rtc_back_len1200_factors_5_5_16_3_wgs_225_tpt_75_halfLds_sp_ip_CI_unitstride_sbrr_C2R_dirReg
	.p2align	8
	.type	fft_rtc_back_len1200_factors_5_5_16_3_wgs_225_tpt_75_halfLds_sp_ip_CI_unitstride_sbrr_C2R_dirReg,@function
fft_rtc_back_len1200_factors_5_5_16_3_wgs_225_tpt_75_halfLds_sp_ip_CI_unitstride_sbrr_C2R_dirReg: ; @fft_rtc_back_len1200_factors_5_5_16_3_wgs_225_tpt_75_halfLds_sp_ip_CI_unitstride_sbrr_C2R_dirReg
; %bb.0:
	s_load_b128 s[4:7], s[0:1], 0x0
	v_mul_u32_u24_e32 v1, 0x36a, v0
	s_clause 0x1
	s_load_b64 s[8:9], s[0:1], 0x50
	s_load_b64 s[10:11], s[0:1], 0x18
	v_mov_b32_e32 v5, 0
	v_lshrrev_b32_e32 v1, 16, v1
	s_delay_alu instid0(VALU_DEP_1) | instskip(SKIP_3) | instid1(VALU_DEP_1)
	v_mad_co_u64_u32 v[1:2], null, ttmp9, 3, v[1:2]
	v_mov_b32_e32 v3, 0
	v_mov_b32_e32 v4, 0
	;; [unrolled: 1-line block ×4, first 2 shown]
	s_wait_kmcnt 0x0
	v_cmp_lt_u64_e64 s2, s[6:7], 2
	v_mov_b32_e32 v9, v1
	s_delay_alu instid0(VALU_DEP_2)
	s_and_b32 vcc_lo, exec_lo, s2
	s_cbranch_vccnz .LBB0_8
; %bb.1:
	s_load_b64 s[2:3], s[0:1], 0x10
	v_dual_mov_b32 v3, 0 :: v_dual_mov_b32 v8, v2
	v_dual_mov_b32 v4, 0 :: v_dual_mov_b32 v7, v1
	s_add_nc_u64 s[12:13], s[10:11], 8
	s_mov_b64 s[14:15], 1
	s_wait_kmcnt 0x0
	s_add_nc_u64 s[16:17], s[2:3], 8
	s_mov_b32 s3, 0
.LBB0_2:                                ; =>This Inner Loop Header: Depth=1
	s_load_b64 s[18:19], s[16:17], 0x0
                                        ; implicit-def: $vgpr9_vgpr10
	s_mov_b32 s2, exec_lo
	s_wait_kmcnt 0x0
	v_or_b32_e32 v6, s19, v8
	s_delay_alu instid0(VALU_DEP_1)
	v_cmpx_ne_u64_e32 0, v[5:6]
	s_wait_alu 0xfffe
	s_xor_b32 s20, exec_lo, s2
	s_cbranch_execz .LBB0_4
; %bb.3:                                ;   in Loop: Header=BB0_2 Depth=1
	s_cvt_f32_u32 s2, s18
	s_cvt_f32_u32 s21, s19
	s_sub_nc_u64 s[24:25], 0, s[18:19]
	s_wait_alu 0xfffe
	s_delay_alu instid0(SALU_CYCLE_1) | instskip(SKIP_1) | instid1(SALU_CYCLE_2)
	s_fmamk_f32 s2, s21, 0x4f800000, s2
	s_wait_alu 0xfffe
	v_s_rcp_f32 s2, s2
	s_delay_alu instid0(TRANS32_DEP_1) | instskip(SKIP_1) | instid1(SALU_CYCLE_2)
	s_mul_f32 s2, s2, 0x5f7ffffc
	s_wait_alu 0xfffe
	s_mul_f32 s21, s2, 0x2f800000
	s_wait_alu 0xfffe
	s_delay_alu instid0(SALU_CYCLE_2) | instskip(SKIP_1) | instid1(SALU_CYCLE_2)
	s_trunc_f32 s21, s21
	s_wait_alu 0xfffe
	s_fmamk_f32 s2, s21, 0xcf800000, s2
	s_cvt_u32_f32 s23, s21
	s_wait_alu 0xfffe
	s_delay_alu instid0(SALU_CYCLE_1) | instskip(SKIP_1) | instid1(SALU_CYCLE_2)
	s_cvt_u32_f32 s22, s2
	s_wait_alu 0xfffe
	s_mul_u64 s[26:27], s[24:25], s[22:23]
	s_wait_alu 0xfffe
	s_mul_hi_u32 s29, s22, s27
	s_mul_i32 s28, s22, s27
	s_mul_hi_u32 s2, s22, s26
	s_mul_i32 s30, s23, s26
	s_wait_alu 0xfffe
	s_add_nc_u64 s[28:29], s[2:3], s[28:29]
	s_mul_hi_u32 s21, s23, s26
	s_mul_hi_u32 s31, s23, s27
	s_add_co_u32 s2, s28, s30
	s_wait_alu 0xfffe
	s_add_co_ci_u32 s2, s29, s21
	s_mul_i32 s26, s23, s27
	s_add_co_ci_u32 s27, s31, 0
	s_wait_alu 0xfffe
	s_add_nc_u64 s[26:27], s[2:3], s[26:27]
	s_wait_alu 0xfffe
	v_add_co_u32 v2, s2, s22, s26
	s_delay_alu instid0(VALU_DEP_1) | instskip(SKIP_1) | instid1(VALU_DEP_1)
	s_cmp_lg_u32 s2, 0
	s_add_co_ci_u32 s23, s23, s27
	v_readfirstlane_b32 s22, v2
	s_wait_alu 0xfffe
	s_delay_alu instid0(VALU_DEP_1)
	s_mul_u64 s[24:25], s[24:25], s[22:23]
	s_wait_alu 0xfffe
	s_mul_hi_u32 s27, s22, s25
	s_mul_i32 s26, s22, s25
	s_mul_hi_u32 s2, s22, s24
	s_mul_i32 s28, s23, s24
	s_wait_alu 0xfffe
	s_add_nc_u64 s[26:27], s[2:3], s[26:27]
	s_mul_hi_u32 s21, s23, s24
	s_mul_hi_u32 s22, s23, s25
	s_wait_alu 0xfffe
	s_add_co_u32 s2, s26, s28
	s_add_co_ci_u32 s2, s27, s21
	s_mul_i32 s24, s23, s25
	s_add_co_ci_u32 s25, s22, 0
	s_wait_alu 0xfffe
	s_add_nc_u64 s[24:25], s[2:3], s[24:25]
	s_wait_alu 0xfffe
	v_add_co_u32 v2, s2, v2, s24
	s_delay_alu instid0(VALU_DEP_1) | instskip(SKIP_1) | instid1(VALU_DEP_1)
	s_cmp_lg_u32 s2, 0
	s_add_co_ci_u32 s2, s23, s25
	v_mul_hi_u32 v6, v7, v2
	s_wait_alu 0xfffe
	v_mad_co_u64_u32 v[9:10], null, v7, s2, 0
	v_mad_co_u64_u32 v[11:12], null, v8, v2, 0
	;; [unrolled: 1-line block ×3, first 2 shown]
	s_delay_alu instid0(VALU_DEP_3) | instskip(SKIP_1) | instid1(VALU_DEP_4)
	v_add_co_u32 v2, vcc_lo, v6, v9
	s_wait_alu 0xfffd
	v_add_co_ci_u32_e32 v6, vcc_lo, 0, v10, vcc_lo
	s_delay_alu instid0(VALU_DEP_2) | instskip(SKIP_1) | instid1(VALU_DEP_2)
	v_add_co_u32 v2, vcc_lo, v2, v11
	s_wait_alu 0xfffd
	v_add_co_ci_u32_e32 v2, vcc_lo, v6, v12, vcc_lo
	s_wait_alu 0xfffd
	v_add_co_ci_u32_e32 v6, vcc_lo, 0, v14, vcc_lo
	s_delay_alu instid0(VALU_DEP_2) | instskip(SKIP_1) | instid1(VALU_DEP_2)
	v_add_co_u32 v2, vcc_lo, v2, v13
	s_wait_alu 0xfffd
	v_add_co_ci_u32_e32 v6, vcc_lo, 0, v6, vcc_lo
	s_delay_alu instid0(VALU_DEP_2) | instskip(SKIP_1) | instid1(VALU_DEP_3)
	v_mul_lo_u32 v11, s19, v2
	v_mad_co_u64_u32 v[9:10], null, s18, v2, 0
	v_mul_lo_u32 v12, s18, v6
	s_delay_alu instid0(VALU_DEP_2) | instskip(NEXT) | instid1(VALU_DEP_2)
	v_sub_co_u32 v9, vcc_lo, v7, v9
	v_add3_u32 v10, v10, v12, v11
	s_delay_alu instid0(VALU_DEP_1) | instskip(SKIP_1) | instid1(VALU_DEP_1)
	v_sub_nc_u32_e32 v11, v8, v10
	s_wait_alu 0xfffd
	v_subrev_co_ci_u32_e64 v11, s2, s19, v11, vcc_lo
	v_add_co_u32 v12, s2, v2, 2
	s_wait_alu 0xf1ff
	v_add_co_ci_u32_e64 v13, s2, 0, v6, s2
	v_sub_co_u32 v14, s2, v9, s18
	v_sub_co_ci_u32_e32 v10, vcc_lo, v8, v10, vcc_lo
	s_wait_alu 0xf1ff
	v_subrev_co_ci_u32_e64 v11, s2, 0, v11, s2
	s_delay_alu instid0(VALU_DEP_3) | instskip(NEXT) | instid1(VALU_DEP_3)
	v_cmp_le_u32_e32 vcc_lo, s18, v14
	v_cmp_eq_u32_e64 s2, s19, v10
	s_wait_alu 0xfffd
	v_cndmask_b32_e64 v14, 0, -1, vcc_lo
	v_cmp_le_u32_e32 vcc_lo, s19, v11
	s_wait_alu 0xfffd
	v_cndmask_b32_e64 v15, 0, -1, vcc_lo
	v_cmp_le_u32_e32 vcc_lo, s18, v9
	;; [unrolled: 3-line block ×3, first 2 shown]
	s_wait_alu 0xfffd
	v_cndmask_b32_e64 v16, 0, -1, vcc_lo
	v_cmp_eq_u32_e32 vcc_lo, s19, v11
	s_wait_alu 0xf1ff
	s_delay_alu instid0(VALU_DEP_2)
	v_cndmask_b32_e64 v9, v16, v9, s2
	s_wait_alu 0xfffd
	v_cndmask_b32_e32 v11, v15, v14, vcc_lo
	v_add_co_u32 v14, vcc_lo, v2, 1
	s_wait_alu 0xfffd
	v_add_co_ci_u32_e32 v15, vcc_lo, 0, v6, vcc_lo
	s_delay_alu instid0(VALU_DEP_3) | instskip(SKIP_1) | instid1(VALU_DEP_2)
	v_cmp_ne_u32_e32 vcc_lo, 0, v11
	s_wait_alu 0xfffd
	v_dual_cndmask_b32 v10, v15, v13 :: v_dual_cndmask_b32 v11, v14, v12
	v_cmp_ne_u32_e32 vcc_lo, 0, v9
	s_wait_alu 0xfffd
	s_delay_alu instid0(VALU_DEP_2) | instskip(NEXT) | instid1(VALU_DEP_3)
	v_cndmask_b32_e32 v10, v6, v10, vcc_lo
	v_cndmask_b32_e32 v9, v2, v11, vcc_lo
.LBB0_4:                                ;   in Loop: Header=BB0_2 Depth=1
	s_wait_alu 0xfffe
	s_and_not1_saveexec_b32 s2, s20
	s_cbranch_execz .LBB0_6
; %bb.5:                                ;   in Loop: Header=BB0_2 Depth=1
	v_cvt_f32_u32_e32 v2, s18
	s_sub_co_i32 s20, 0, s18
	s_delay_alu instid0(VALU_DEP_1) | instskip(NEXT) | instid1(TRANS32_DEP_1)
	v_rcp_iflag_f32_e32 v2, v2
	v_mul_f32_e32 v2, 0x4f7ffffe, v2
	s_delay_alu instid0(VALU_DEP_1) | instskip(SKIP_1) | instid1(VALU_DEP_1)
	v_cvt_u32_f32_e32 v2, v2
	s_wait_alu 0xfffe
	v_mul_lo_u32 v6, s20, v2
	s_delay_alu instid0(VALU_DEP_1) | instskip(NEXT) | instid1(VALU_DEP_1)
	v_mul_hi_u32 v6, v2, v6
	v_add_nc_u32_e32 v2, v2, v6
	s_delay_alu instid0(VALU_DEP_1) | instskip(NEXT) | instid1(VALU_DEP_1)
	v_mul_hi_u32 v2, v7, v2
	v_mul_lo_u32 v6, v2, s18
	v_add_nc_u32_e32 v9, 1, v2
	s_delay_alu instid0(VALU_DEP_2) | instskip(NEXT) | instid1(VALU_DEP_1)
	v_sub_nc_u32_e32 v6, v7, v6
	v_subrev_nc_u32_e32 v10, s18, v6
	v_cmp_le_u32_e32 vcc_lo, s18, v6
	s_wait_alu 0xfffd
	s_delay_alu instid0(VALU_DEP_2) | instskip(SKIP_2) | instid1(VALU_DEP_3)
	v_cndmask_b32_e32 v6, v6, v10, vcc_lo
	v_mov_b32_e32 v10, v5
	v_cndmask_b32_e32 v2, v2, v9, vcc_lo
	v_cmp_le_u32_e32 vcc_lo, s18, v6
	s_delay_alu instid0(VALU_DEP_2) | instskip(SKIP_1) | instid1(VALU_DEP_1)
	v_add_nc_u32_e32 v9, 1, v2
	s_wait_alu 0xfffd
	v_cndmask_b32_e32 v9, v2, v9, vcc_lo
.LBB0_6:                                ;   in Loop: Header=BB0_2 Depth=1
	s_wait_alu 0xfffe
	s_or_b32 exec_lo, exec_lo, s2
	s_load_b64 s[20:21], s[12:13], 0x0
	v_mul_lo_u32 v2, v10, s18
	v_mul_lo_u32 v6, v9, s19
	v_mad_co_u64_u32 v[11:12], null, v9, s18, 0
	s_add_nc_u64 s[14:15], s[14:15], 1
	s_add_nc_u64 s[12:13], s[12:13], 8
	s_wait_alu 0xfffe
	v_cmp_ge_u64_e64 s2, s[14:15], s[6:7]
	s_add_nc_u64 s[16:17], s[16:17], 8
	s_delay_alu instid0(VALU_DEP_2) | instskip(NEXT) | instid1(VALU_DEP_3)
	v_add3_u32 v2, v12, v6, v2
	v_sub_co_u32 v6, vcc_lo, v7, v11
	s_wait_alu 0xfffd
	s_delay_alu instid0(VALU_DEP_2) | instskip(SKIP_3) | instid1(VALU_DEP_2)
	v_sub_co_ci_u32_e32 v2, vcc_lo, v8, v2, vcc_lo
	s_and_b32 vcc_lo, exec_lo, s2
	s_wait_kmcnt 0x0
	v_mul_lo_u32 v7, s21, v6
	v_mul_lo_u32 v2, s20, v2
	v_mad_co_u64_u32 v[3:4], null, s20, v6, v[3:4]
	s_delay_alu instid0(VALU_DEP_1)
	v_add3_u32 v4, v7, v4, v2
	s_wait_alu 0xfffe
	s_cbranch_vccnz .LBB0_8
; %bb.7:                                ;   in Loop: Header=BB0_2 Depth=1
	v_dual_mov_b32 v7, v9 :: v_dual_mov_b32 v8, v10
	s_branch .LBB0_2
.LBB0_8:
	s_lshl_b64 s[2:3], s[6:7], 3
	v_mul_hi_u32 v2, 0xaaaaaaab, v1
	s_wait_alu 0xfffe
	s_add_nc_u64 s[2:3], s[10:11], s[2:3]
	s_load_b64 s[0:1], s[0:1], 0x20
	s_load_b64 s[2:3], s[2:3], 0x0
	v_mul_hi_u32 v5, 0x369d037, v0
	s_delay_alu instid0(VALU_DEP_2) | instskip(NEXT) | instid1(VALU_DEP_1)
	v_lshrrev_b32_e32 v2, 1, v2
	v_lshl_add_u32 v6, v2, 1, v2
	s_delay_alu instid0(VALU_DEP_1)
	v_sub_nc_u32_e32 v1, v1, v6
	s_wait_kmcnt 0x0
	v_cmp_gt_u64_e32 vcc_lo, s[0:1], v[9:10]
	v_mul_lo_u32 v7, s2, v10
	v_mul_lo_u32 v8, s3, v9
	v_mad_co_u64_u32 v[2:3], null, s2, v9, v[3:4]
	v_mul_u32_u24_e32 v4, 0x4b, v5
	v_mul_u32_u24_e32 v59, 0x4b1, v1
	s_delay_alu instid0(VALU_DEP_2) | instskip(NEXT) | instid1(VALU_DEP_4)
	v_sub_nc_u32_e32 v50, v0, v4
	v_add3_u32 v3, v8, v3, v7
	s_delay_alu instid0(VALU_DEP_3) | instskip(NEXT) | instid1(VALU_DEP_2)
	v_lshlrev_b32_e32 v61, 3, v59
	v_lshlrev_b64_e32 v[52:53], 3, v[2:3]
	s_and_saveexec_b32 s1, vcc_lo
	s_cbranch_execz .LBB0_12
; %bb.9:
	v_mov_b32_e32 v51, 0
	s_delay_alu instid0(VALU_DEP_2) | instskip(SKIP_2) | instid1(VALU_DEP_3)
	v_add_co_u32 v0, s0, s8, v52
	s_wait_alu 0xf1ff
	v_add_co_ci_u32_e64 v1, s0, s9, v53, s0
	v_lshlrev_b64_e32 v[2:3], 3, v[50:51]
	s_mov_b32 s2, exec_lo
	s_delay_alu instid0(VALU_DEP_1) | instskip(SKIP_1) | instid1(VALU_DEP_2)
	v_add_co_u32 v2, s0, v0, v2
	s_wait_alu 0xf1ff
	v_add_co_ci_u32_e64 v3, s0, v1, v3, s0
	s_clause 0xf
	global_load_b64 v[4:5], v[2:3], off
	global_load_b64 v[6:7], v[2:3], off offset:600
	global_load_b64 v[8:9], v[2:3], off offset:1200
	;; [unrolled: 1-line block ×15, first 2 shown]
	v_lshlrev_b32_e32 v2, 3, v50
	s_delay_alu instid0(VALU_DEP_1) | instskip(NEXT) | instid1(VALU_DEP_1)
	v_add3_u32 v2, 0, v61, v2
	v_add_nc_u32_e32 v3, 0x800, v2
	v_add_nc_u32_e32 v36, 0xc00, v2
	;; [unrolled: 1-line block ×6, first 2 shown]
	s_wait_loadcnt 0xe
	ds_store_2addr_b64 v2, v[4:5], v[6:7] offset1:75
	s_wait_loadcnt 0xc
	ds_store_2addr_b64 v2, v[8:9], v[10:11] offset0:150 offset1:225
	s_wait_loadcnt 0xa
	ds_store_2addr_b64 v3, v[12:13], v[14:15] offset0:44 offset1:119
	;; [unrolled: 2-line block ×7, first 2 shown]
	v_cmpx_eq_u32_e32 0x4a, v50
	s_cbranch_execz .LBB0_11
; %bb.10:
	global_load_b64 v[0:1], v[0:1], off offset:9600
	v_mov_b32_e32 v50, 0x4a
	s_wait_loadcnt 0x0
	ds_store_b64 v2, v[0:1] offset:9008
.LBB0_11:
	s_wait_alu 0xfffe
	s_or_b32 exec_lo, exec_lo, s2
.LBB0_12:
	s_wait_alu 0xfffe
	s_or_b32 exec_lo, exec_lo, s1
	v_lshl_add_u32 v58, v59, 3, 0
	v_lshlrev_b32_e32 v0, 3, v50
	global_wb scope:SCOPE_SE
	s_wait_dscnt 0x0
	s_barrier_signal -1
	s_barrier_wait -1
	global_inv scope:SCOPE_SE
	v_add_nc_u32_e32 v60, v58, v0
	v_sub_nc_u32_e32 v4, v58, v0
	s_mov_b32 s1, exec_lo
                                        ; implicit-def: $vgpr2_vgpr3
	ds_load_b32 v5, v60
	ds_load_b32 v6, v4 offset:9600
	s_wait_dscnt 0x0
	v_dual_sub_f32 v1, v5, v6 :: v_dual_add_f32 v0, v6, v5
	v_cmpx_ne_u32_e32 0, v50
	s_wait_alu 0xfffe
	s_xor_b32 s1, exec_lo, s1
	s_cbranch_execz .LBB0_14
; %bb.13:
	v_dual_mov_b32 v51, 0 :: v_dual_sub_f32 v8, v5, v6
	s_delay_alu instid0(VALU_DEP_1) | instskip(NEXT) | instid1(VALU_DEP_1)
	v_lshlrev_b64_e32 v[0:1], 3, v[50:51]
	v_add_co_u32 v0, s0, s4, v0
	s_wait_alu 0xf1ff
	s_delay_alu instid0(VALU_DEP_2)
	v_add_co_ci_u32_e64 v1, s0, s5, v1, s0
	global_load_b64 v[2:3], v[0:1], off offset:9560
	ds_load_b32 v0, v4 offset:9604
	ds_load_b32 v1, v60 offset:4
	v_add_f32_e32 v7, v6, v5
	s_wait_dscnt 0x0
	v_dual_add_f32 v9, v0, v1 :: v_dual_sub_f32 v0, v1, v0
	s_wait_loadcnt 0x0
	s_delay_alu instid0(VALU_DEP_2) | instskip(NEXT) | instid1(VALU_DEP_2)
	v_fma_f32 v5, -v8, v3, v7
	v_fma_f32 v6, v9, v3, -v0
	v_fma_f32 v10, v8, v3, v7
	v_fma_f32 v1, v9, v3, v0
	s_delay_alu instid0(VALU_DEP_3) | instskip(NEXT) | instid1(VALU_DEP_3)
	v_dual_fmac_f32 v5, v2, v9 :: v_dual_fmac_f32 v6, v8, v2
	v_fma_f32 v0, -v2, v9, v10
	s_delay_alu instid0(VALU_DEP_3)
	v_dual_fmac_f32 v1, v8, v2 :: v_dual_mov_b32 v2, v50
	v_mov_b32_e32 v3, v51
	ds_store_b64 v4, v[5:6] offset:9600
.LBB0_14:
	s_wait_alu 0xfffe
	s_and_not1_saveexec_b32 s0, s1
	s_cbranch_execz .LBB0_16
; %bb.15:
	ds_load_b64 v[2:3], v58 offset:4800
	s_wait_dscnt 0x0
	v_dual_add_f32 v5, v2, v2 :: v_dual_mul_f32 v6, -2.0, v3
	v_mov_b32_e32 v2, 0
	v_mov_b32_e32 v3, 0
	ds_store_b64 v58, v[5:6] offset:4800
.LBB0_16:
	s_wait_alu 0xfffe
	s_or_b32 exec_lo, exec_lo, s0
	v_lshlrev_b64_e32 v[2:3], 3, v[2:3]
	s_add_nc_u64 s[0:1], s[4:5], 0x2558
	v_lshl_add_u32 v62, v50, 3, 0
	s_wait_alu 0xfffe
	s_delay_alu instid0(VALU_DEP_2)
	v_add_co_u32 v2, s0, s0, v2
	s_wait_alu 0xf1ff
	v_add_co_ci_u32_e64 v3, s0, s1, v3, s0
	v_add_nc_u32_e32 v51, v62, v61
	v_cmp_gt_u32_e64 s0, 15, v50
	s_clause 0x6
	global_load_b64 v[5:6], v[2:3], off offset:600
	global_load_b64 v[7:8], v[2:3], off offset:1200
	;; [unrolled: 1-line block ×7, first 2 shown]
	ds_store_b64 v60, v[0:1]
	ds_load_b64 v[0:1], v60 offset:600
	ds_load_b64 v[17:18], v4 offset:9000
	v_add_nc_u32_e32 v39, 0x800, v51
	v_add_nc_u32_e32 v41, 0x2000, v51
	;; [unrolled: 1-line block ×3, first 2 shown]
	s_wait_dscnt 0x0
	v_dual_add_f32 v19, v0, v17 :: v_dual_add_nc_u32 v40, 0x1800, v51
	v_add_f32_e32 v20, v18, v1
	v_dual_sub_f32 v21, v0, v17 :: v_dual_sub_f32 v0, v1, v18
	s_wait_loadcnt 0x6
	s_delay_alu instid0(VALU_DEP_1) | instskip(NEXT) | instid1(VALU_DEP_2)
	v_fma_f32 v22, v21, v6, v19
	v_fma_f32 v1, v20, v6, v0
	v_fma_f32 v17, -v21, v6, v19
	v_fma_f32 v18, v20, v6, -v0
	s_delay_alu instid0(VALU_DEP_4) | instskip(NEXT) | instid1(VALU_DEP_4)
	v_fma_f32 v0, -v5, v20, v22
	v_fmac_f32_e32 v1, v21, v5
	s_delay_alu instid0(VALU_DEP_4) | instskip(NEXT) | instid1(VALU_DEP_4)
	v_fmac_f32_e32 v17, v5, v20
	v_fmac_f32_e32 v18, v21, v5
	ds_store_b64 v60, v[0:1] offset:600
	ds_store_b64 v4, v[17:18] offset:9000
	ds_load_b64 v[0:1], v60 offset:1200
	ds_load_b64 v[5:6], v4 offset:8400
	s_wait_dscnt 0x0
	v_add_f32_e32 v17, v0, v5
	v_add_f32_e32 v18, v6, v1
	v_dual_sub_f32 v19, v0, v5 :: v_dual_sub_f32 v0, v1, v6
	s_wait_loadcnt 0x5
	s_delay_alu instid0(VALU_DEP_1) | instskip(NEXT) | instid1(VALU_DEP_2)
	v_fma_f32 v20, v19, v8, v17
	v_fma_f32 v1, v18, v8, v0
	v_fma_f32 v5, -v19, v8, v17
	v_fma_f32 v6, v18, v8, -v0
	s_delay_alu instid0(VALU_DEP_4) | instskip(NEXT) | instid1(VALU_DEP_4)
	v_fma_f32 v0, -v7, v18, v20
	v_fmac_f32_e32 v1, v19, v7
	s_delay_alu instid0(VALU_DEP_4) | instskip(NEXT) | instid1(VALU_DEP_4)
	v_fmac_f32_e32 v5, v7, v18
	v_fmac_f32_e32 v6, v19, v7
	ds_store_b64 v60, v[0:1] offset:1200
	ds_store_b64 v4, v[5:6] offset:8400
	ds_load_b64 v[0:1], v60 offset:1800
	ds_load_b64 v[5:6], v4 offset:7800
	s_wait_dscnt 0x0
	v_add_f32_e32 v8, v6, v1
	;; [unrolled: 20-line block ×3, first 2 shown]
	v_add_f32_e32 v8, v6, v1
	v_dual_sub_f32 v9, v0, v5 :: v_dual_sub_f32 v0, v1, v6
	s_wait_loadcnt 0x3
	s_delay_alu instid0(VALU_DEP_1) | instskip(NEXT) | instid1(VALU_DEP_2)
	v_fma_f32 v10, v9, v12, v7
	v_fma_f32 v1, v8, v12, v0
	v_fma_f32 v5, -v9, v12, v7
	v_fma_f32 v6, v8, v12, -v0
	s_delay_alu instid0(VALU_DEP_4) | instskip(NEXT) | instid1(VALU_DEP_4)
	v_fma_f32 v0, -v11, v8, v10
	v_fmac_f32_e32 v1, v9, v11
	s_delay_alu instid0(VALU_DEP_3)
	v_dual_fmac_f32 v5, v11, v8 :: v_dual_fmac_f32 v6, v9, v11
	ds_store_b64 v60, v[0:1] offset:2400
	ds_store_b64 v4, v[5:6] offset:7200
	ds_load_b64 v[0:1], v60 offset:3000
	ds_load_b64 v[5:6], v4 offset:6600
	s_wait_dscnt 0x0
	v_add_f32_e32 v7, v0, v5
	v_add_f32_e32 v8, v6, v1
	v_dual_sub_f32 v9, v0, v5 :: v_dual_sub_f32 v0, v1, v6
	s_wait_loadcnt 0x2
	s_delay_alu instid0(VALU_DEP_1) | instskip(NEXT) | instid1(VALU_DEP_2)
	v_fma_f32 v10, v9, v14, v7
	v_fma_f32 v1, v8, v14, v0
	v_fma_f32 v5, -v9, v14, v7
	v_fma_f32 v6, v8, v14, -v0
	s_delay_alu instid0(VALU_DEP_4) | instskip(NEXT) | instid1(VALU_DEP_4)
	v_fma_f32 v0, -v13, v8, v10
	v_fmac_f32_e32 v1, v9, v13
	s_delay_alu instid0(VALU_DEP_4) | instskip(NEXT) | instid1(VALU_DEP_4)
	v_fmac_f32_e32 v5, v13, v8
	v_fmac_f32_e32 v6, v9, v13
	ds_store_b64 v60, v[0:1] offset:3000
	ds_store_b64 v4, v[5:6] offset:6600
	ds_load_b64 v[0:1], v60 offset:3600
	ds_load_b64 v[5:6], v4 offset:6000
	s_wait_dscnt 0x0
	v_add_f32_e32 v7, v0, v5
	v_add_f32_e32 v8, v6, v1
	v_dual_sub_f32 v9, v0, v5 :: v_dual_sub_f32 v0, v1, v6
	s_wait_loadcnt 0x1
	s_delay_alu instid0(VALU_DEP_1) | instskip(NEXT) | instid1(VALU_DEP_2)
	v_fma_f32 v10, v9, v16, v7
	v_fma_f32 v1, v8, v16, v0
	v_fma_f32 v5, -v9, v16, v7
	v_fma_f32 v6, v8, v16, -v0
	s_delay_alu instid0(VALU_DEP_4) | instskip(NEXT) | instid1(VALU_DEP_4)
	v_fma_f32 v0, -v15, v8, v10
	v_fmac_f32_e32 v1, v9, v15
	s_delay_alu instid0(VALU_DEP_3)
	v_dual_fmac_f32 v5, v15, v8 :: v_dual_fmac_f32 v6, v9, v15
	ds_store_b64 v60, v[0:1] offset:3600
	ds_store_b64 v4, v[5:6] offset:6000
	ds_load_b64 v[0:1], v60 offset:4200
	ds_load_b64 v[5:6], v4 offset:5400
	s_wait_dscnt 0x0
	v_add_f32_e32 v7, v0, v5
	v_sub_f32_e32 v9, v0, v5
	v_add_f32_e32 v8, v6, v1
	v_sub_f32_e32 v0, v1, v6
	s_wait_loadcnt 0x0
	s_delay_alu instid0(VALU_DEP_3) | instskip(SKIP_1) | instid1(VALU_DEP_3)
	v_fma_f32 v10, v9, v3, v7
	v_fma_f32 v5, -v9, v3, v7
	v_fma_f32 v1, v8, v3, v0
	s_delay_alu instid0(VALU_DEP_1) | instskip(SKIP_2) | instid1(VALU_DEP_2)
	v_fmac_f32_e32 v1, v9, v2
	v_fma_f32 v6, v8, v3, -v0
	v_fma_f32 v0, -v2, v8, v10
	v_dual_fmac_f32 v5, v2, v8 :: v_dual_fmac_f32 v6, v9, v2
	ds_store_b64 v60, v[0:1] offset:4200
	ds_store_b64 v4, v[5:6] offset:5400
	global_wb scope:SCOPE_SE
	s_wait_dscnt 0x0
	s_barrier_signal -1
	s_barrier_wait -1
	global_inv scope:SCOPE_SE
	global_wb scope:SCOPE_SE
	s_barrier_signal -1
	s_barrier_wait -1
	global_inv scope:SCOPE_SE
	ds_load_2addr_b64 v[0:3], v51 offset0:225 offset1:240
	ds_load_2addr_b64 v[17:20], v39 offset0:209 offset1:224
	ds_load_b64 v[33:34], v60
	ds_load_2addr_b64 v[8:11], v38 offset0:193 offset1:208
	ds_load_2addr_b64 v[4:7], v51 offset0:75 offset1:150
	;; [unrolled: 1-line block ×6, first 2 shown]
	ds_load_b64 v[35:36], v51 offset:9480
	s_wait_dscnt 0x4
	v_add_f32_e32 v44, v4, v29
	s_wait_dscnt 0x3
	v_sub_f32_e32 v47, v29, v25
	v_add_f32_e32 v12, v33, v2
	v_add_f32_e32 v42, v34, v3
	s_wait_dscnt 0x2
	v_add_f32_e32 v46, v25, v21
	v_dual_sub_f32 v57, v25, v29 :: v_dual_add_f32 v76, v7, v32
	v_add_f32_e32 v64, v5, v30
	v_dual_sub_f32 v67, v25, v21 :: v_dual_sub_f32 v80, v28, v24
	v_add_f32_e32 v25, v44, v25
	s_wait_dscnt 0x1
	v_dual_add_f32 v37, v19, v10 :: v_dual_add_f32 v56, v29, v13
	v_dual_sub_f32 v45, v20, v11 :: v_dual_sub_f32 v66, v29, v13
	v_dual_add_f32 v43, v20, v11 :: v_dual_sub_f32 v68, v14, v22
	v_sub_f32_e32 v48, v19, v10
	v_dual_sub_f32 v49, v30, v14 :: v_dual_add_f32 v74, v31, v15
	v_dual_sub_f32 v54, v26, v22 :: v_dual_sub_f32 v55, v13, v21
	v_dual_sub_f32 v70, v22, v14 :: v_dual_sub_f32 v63, v21, v13
	v_dual_add_f32 v78, v32, v16 :: v_dual_add_f32 v65, v26, v22
	v_dual_sub_f32 v29, v30, v26 :: v_dual_sub_f32 v82, v27, v23
	v_dual_add_f32 v69, v30, v14 :: v_dual_sub_f32 v84, v23, v15
	v_sub_f32_e32 v30, v26, v30
	v_dual_add_f32 v71, v6, v31 :: v_dual_add_f32 v86, v0, v17
	v_dual_sub_f32 v73, v31, v27 :: v_dual_sub_f32 v88, v8, v17
	v_dual_sub_f32 v75, v27, v31 :: v_dual_sub_f32 v90, v18, v9
	v_dual_sub_f32 v77, v31, v15 :: v_dual_add_f32 v26, v64, v26
	v_dual_sub_f32 v31, v32, v28 :: v_dual_sub_f32 v92, v2, v19
	s_wait_dscnt 0x0
	v_dual_sub_f32 v83, v15, v23 :: v_dual_sub_f32 v64, v18, v36
	v_dual_sub_f32 v87, v17, v8 :: v_dual_sub_f32 v44, v20, v3
	v_dual_add_f32 v89, v1, v18 :: v_dual_sub_f32 v94, v3, v20
	v_dual_sub_f32 v91, v9, v18 :: v_dual_add_f32 v12, v12, v19
	v_dual_sub_f32 v93, v19, v2 :: v_dual_add_f32 v42, v42, v20
	v_add_f32_e32 v95, v18, v36
	v_dual_add_f32 v97, v25, v21 :: v_dual_add_f32 v70, v30, v70
	ds_load_2addr_b64 v[18:21], v40 offset0:177 offset1:192
	v_sub_f32_e32 v72, v32, v16
	v_dual_sub_f32 v32, v28, v32 :: v_dual_add_f32 v79, v27, v23
	v_add_f32_e32 v81, v28, v24
	v_dual_add_f32 v27, v71, v27 :: v_dual_sub_f32 v96, v24, v16
	v_dual_add_f32 v28, v76, v28 :: v_dual_add_f32 v71, v17, v35
	v_dual_sub_f32 v76, v17, v35 :: v_dual_sub_f32 v85, v16, v24
	v_add_f32_e32 v98, v26, v22
	s_delay_alu instid0(VALU_DEP_3)
	v_add_f32_e32 v100, v28, v24
	v_fma_f32 v22, -0.5, v37, v33
	v_fma_f32 v28, -0.5, v79, v6
	;; [unrolled: 1-line block ×3, first 2 shown]
	v_add_f32_e32 v32, v32, v96
	v_fma_f32 v25, -0.5, v65, v5
	v_fma_f32 v26, -0.5, v56, v4
	v_add_f32_e32 v63, v57, v63
	s_wait_dscnt 0x0
	v_dual_sub_f32 v17, v20, v10 :: v_dual_add_f32 v24, v3, v21
	v_sub_f32_e32 v74, v9, v19
	v_sub_f32_e32 v30, v35, v18
	v_add_f32_e32 v68, v29, v68
	s_delay_alu instid0(VALU_DEP_4) | instskip(SKIP_3) | instid1(VALU_DEP_4)
	v_dual_add_f32 v92, v92, v17 :: v_dual_sub_f32 v17, v10, v20
	v_add_f32_e32 v75, v75, v84
	v_fma_f32 v29, -0.5, v81, v7
	v_sub_f32_e32 v79, v8, v18
	v_dual_add_f32 v14, v98, v14 :: v_dual_add_f32 v37, v93, v17
	v_dual_sub_f32 v17, v21, v11 :: v_dual_add_f32 v16, v100, v16
	global_wb scope:SCOPE_SE
	s_barrier_signal -1
	s_barrier_wait -1
	v_add_f32_e32 v93, v94, v17
	v_sub_f32_e32 v17, v11, v21
	v_add_f32_e32 v99, v27, v23
	v_add_f32_e32 v23, v2, v20
	v_fma_f32 v27, -0.5, v69, v5
	s_delay_alu instid0(VALU_DEP_4) | instskip(SKIP_1) | instid1(VALU_DEP_4)
	v_dual_add_f32 v5, v9, v19 :: v_dual_add_f32 v94, v44, v17
	v_sub_f32_e32 v2, v2, v20
	v_fma_f32 v33, -0.5, v23, v33
	v_fma_f32 v23, -0.5, v43, v34
	v_fmac_f32_e32 v34, -0.5, v24
	v_mad_u32_u24 v24, v50, 40, 0
	v_sub_f32_e32 v3, v3, v21
	v_fmac_f32_e32 v7, -0.5, v78
	v_add_f32_e32 v78, v87, v30
	v_sub_f32_e32 v30, v36, v19
	v_add_nc_u32_e32 v101, v24, v61
	v_add_nc_u32_e32 v17, 0x1770, v24
	v_fma_f32 v24, -0.5, v46, v4
	v_add_f32_e32 v4, v8, v18
	v_fma_f32 v57, -0.5, v5, v1
	v_dual_add_f32 v5, v86, v8 :: v_dual_add_f32 v8, v89, v9
	v_dual_add_f32 v55, v47, v55 :: v_dual_add_f32 v84, v90, v30
	s_delay_alu instid0(VALU_DEP_4)
	v_fma_f32 v56, -0.5, v4, v0
	v_dual_sub_f32 v4, v19, v36 :: v_dual_add_nc_u32 v65, 0xbc8, v101
	v_add_nc_u32_e32 v69, v17, v61
	v_dual_fmac_f32 v1, -0.5, v95 :: v_dual_fmamk_f32 v30, v49, 0xbf737871, v24
	v_fmac_f32_e32 v24, 0x3f737871, v49
	v_add_f32_e32 v81, v31, v85
	v_sub_f32_e32 v31, v18, v35
	v_dual_add_f32 v85, v91, v4 :: v_dual_add_f32 v4, v12, v10
	v_add_f32_e32 v10, v42, v11
	v_fmamk_f32 v42, v54, 0x3f737871, v26
	v_fma_f32 v12, -0.5, v71, v0
	v_dual_add_f32 v0, v5, v18 :: v_dual_add_f32 v71, v8, v19
	v_fmac_f32_e32 v26, 0xbf737871, v54
	v_fmamk_f32 v18, v45, 0x3f737871, v33
	v_dual_add_f32 v73, v73, v83 :: v_dual_fmamk_f32 v8, v3, 0xbf737871, v22
	v_fmac_f32_e32 v22, 0x3f737871, v3
	v_add_f32_e32 v83, v88, v31
	v_dual_add_f32 v13, v97, v13 :: v_dual_add_f32 v20, v4, v20
	v_dual_add_f32 v15, v99, v15 :: v_dual_fmamk_f32 v44, v72, 0xbf737871, v28
	v_fmac_f32_e32 v33, 0xbf737871, v45
	v_dual_fmamk_f32 v9, v2, 0x3f737871, v23 :: v_dual_fmac_f32 v28, 0x3f737871, v72
	v_dual_fmac_f32 v23, 0xbf737871, v2 :: v_dual_fmamk_f32 v4, v64, 0xbf737871, v56
	v_dual_add_f32 v21, v10, v21 :: v_dual_fmamk_f32 v46, v80, 0x3f737871, v6
	v_dual_fmamk_f32 v31, v66, 0x3f737871, v25 :: v_dual_fmac_f32 v56, 0x3f737871, v64
	v_fmamk_f32 v43, v67, 0xbf737871, v27
	v_dual_fmac_f32 v27, 0x3f737871, v67 :: v_dual_fmamk_f32 v10, v74, 0x3f737871, v12
	v_dual_fmac_f32 v8, 0xbf167918, v45 :: v_dual_fmac_f32 v23, 0xbf167918, v48
	v_fmac_f32_e32 v6, 0xbf737871, v80
	v_dual_fmac_f32 v22, 0x3f167918, v45 :: v_dual_fmac_f32 v33, 0x3f167918, v3
	v_fmamk_f32 v45, v77, 0x3f737871, v29
	v_dual_fmamk_f32 v47, v82, 0xbf737871, v7 :: v_dual_fmac_f32 v12, 0xbf737871, v74
	v_fmamk_f32 v5, v76, 0x3f737871, v57
	v_fmac_f32_e32 v57, 0xbf737871, v76
	v_fmamk_f32 v11, v79, 0xbf737871, v1
	v_fmac_f32_e32 v1, 0x3f737871, v79
	;; [unrolled: 2-line block ×3, first 2 shown]
	v_fmac_f32_e32 v25, 0xbf737871, v66
	v_fmac_f32_e32 v29, 0xbf737871, v77
	;; [unrolled: 1-line block ×3, first 2 shown]
	v_dual_fmac_f32 v9, 0x3f167918, v48 :: v_dual_fmac_f32 v24, 0x3f167918, v54
	v_dual_fmac_f32 v44, 0xbf167918, v80 :: v_dual_fmac_f32 v57, 0xbf167918, v79
	;; [unrolled: 1-line block ×4, first 2 shown]
	v_fmac_f32_e32 v4, 0xbf167918, v74
	v_fmac_f32_e32 v10, 0xbf167918, v64
	;; [unrolled: 1-line block ×4, first 2 shown]
	v_dual_fmac_f32 v1, 0xbf167918, v76 :: v_dual_fmac_f32 v18, 0xbf167918, v3
	v_fmac_f32_e32 v27, 0xbf167918, v66
	v_dual_fmac_f32 v19, 0x3f167918, v2 :: v_dual_fmac_f32 v26, 0x3f167918, v49
	v_fmac_f32_e32 v34, 0xbf167918, v2
	v_dual_fmac_f32 v30, 0xbf167918, v54 :: v_dual_fmac_f32 v7, 0xbf167918, v77
	v_dual_fmac_f32 v31, 0x3f167918, v67 :: v_dual_fmac_f32 v28, 0x3f167918, v80
	v_dual_fmac_f32 v42, 0xbf167918, v49 :: v_dual_fmac_f32 v29, 0xbf167918, v82
	v_dual_fmac_f32 v43, 0x3f167918, v66 :: v_dual_fmac_f32 v6, 0x3f167918, v72
	v_fmac_f32_e32 v46, 0xbf167918, v72
	v_add_f32_e32 v2, v0, v35
	v_fmac_f32_e32 v25, 0xbf167918, v67
	v_add_f32_e32 v3, v71, v36
	v_dual_fmac_f32 v8, 0x3e9e377a, v92 :: v_dual_fmac_f32 v33, 0x3e9e377a, v37
	v_dual_fmac_f32 v22, 0x3e9e377a, v92 :: v_dual_fmac_f32 v9, 0x3e9e377a, v93
	;; [unrolled: 1-line block ×8, first 2 shown]
	v_add_nc_u32_e32 v102, 0xbb8, v101
	v_dual_fmac_f32 v30, 0x3e9e377a, v55 :: v_dual_fmac_f32 v31, 0x3e9e377a, v68
	v_dual_fmac_f32 v42, 0x3e9e377a, v63 :: v_dual_fmac_f32 v43, 0x3e9e377a, v70
	;; [unrolled: 1-line block ×3, first 2 shown]
	global_inv scope:SCOPE_SE
	v_dual_fmac_f32 v24, 0x3e9e377a, v55 :: v_dual_fmac_f32 v25, 0x3e9e377a, v68
	v_dual_fmac_f32 v44, 0x3e9e377a, v73 :: v_dual_fmac_f32 v47, 0x3e9e377a, v32
	;; [unrolled: 1-line block ×5, first 2 shown]
	ds_store_2addr_b64 v101, v[20:21], v[8:9] offset1:1
	ds_store_2addr_b64 v101, v[18:19], v[33:34] offset0:2 offset1:3
	ds_store_2addr_b64 v102, v[13:14], v[30:31] offset1:1
	ds_store_2addr_b64 v65, v[42:43], v[26:27] offset1:1
	ds_store_b64 v101, v[22:23] offset:32
	ds_store_b64 v101, v[24:25] offset:3032
	ds_store_2addr_b64 v69, v[15:16], v[44:45] offset1:1
	ds_store_2addr_b64 v69, v[46:47], v[6:7] offset0:2 offset1:3
	ds_store_b64 v69, v[28:29] offset:32
	s_and_saveexec_b32 s1, s0
	s_cbranch_execz .LBB0_18
; %bb.17:
	v_lshl_add_u32 v0, v59, 3, v17
	s_delay_alu instid0(VALU_DEP_1)
	v_add_nc_u32_e32 v6, 0x800, v0
	ds_store_b64 v0, v[2:3] offset:3000
	ds_store_2addr_b32 v6, v4, v5 offset0:240 offset1:241
	ds_store_2addr_b32 v6, v10, v11 offset0:242 offset1:243
	;; [unrolled: 1-line block ×4, first 2 shown]
.LBB0_18:
	s_wait_alu 0xfffe
	s_or_b32 exec_lo, exec_lo, s1
	v_add_nc_u32_e32 v0, 0x400, v51
	v_add_nc_u32_e32 v6, 0x1400, v51
	global_wb scope:SCOPE_SE
	s_wait_dscnt 0x0
	s_barrier_signal -1
	s_barrier_wait -1
	global_inv scope:SCOPE_SE
	ds_load_b64 v[54:55], v60
	ds_load_2addr_b64 v[34:37], v0 offset0:112 offset1:187
	ds_load_2addr_b64 v[26:29], v39 offset0:134 offset1:224
	;; [unrolled: 1-line block ×7, first 2 shown]
	s_and_saveexec_b32 s1, s0
	s_cbranch_execz .LBB0_20
; %bb.19:
	v_add_nc_u32_e32 v0, 0x1600, v51
	v_add_nc_u32_e32 v1, 0x700, v51
	ds_load_2addr_b64 v[10:13], v0 offset0:1 offset1:241
	ds_load_2addr_b64 v[2:5], v1 offset0:1 offset1:241
	ds_load_b64 v[56:57], v51 offset:9480
	s_wait_dscnt 0x2
	v_mov_b32_e32 v1, v13
.LBB0_20:
	s_wait_alu 0xfffe
	s_or_b32 exec_lo, exec_lo, s1
	v_and_b32_e32 v0, 0xff, v50
	v_add_nc_u32_e32 v63, 0x4b, v50
	s_delay_alu instid0(VALU_DEP_2) | instskip(NEXT) | instid1(VALU_DEP_2)
	v_mul_lo_u16 v13, 0xcd, v0
	v_and_b32_e32 v38, 0xff, v63
	s_delay_alu instid0(VALU_DEP_2) | instskip(NEXT) | instid1(VALU_DEP_2)
	v_lshrrev_b16 v66, 10, v13
	v_mul_lo_u16 v38, 0xcd, v38
	s_delay_alu instid0(VALU_DEP_2) | instskip(NEXT) | instid1(VALU_DEP_2)
	v_mul_lo_u16 v13, v66, 5
	v_lshrrev_b16 v88, 10, v38
	s_delay_alu instid0(VALU_DEP_2) | instskip(NEXT) | instid1(VALU_DEP_2)
	v_sub_nc_u16 v13, v50, v13
	v_mul_lo_u16 v39, v88, 5
	s_delay_alu instid0(VALU_DEP_2) | instskip(NEXT) | instid1(VALU_DEP_1)
	v_and_b32_e32 v67, 0xff, v13
	v_lshlrev_b32_e32 v38, 5, v67
	s_clause 0x1
	global_load_b128 v[68:71], v38, s[4:5]
	global_load_b128 v[72:75], v38, s[4:5] offset:16
	v_add_nc_u32_e32 v64, 0x96, v50
	v_add_nc_u32_e32 v65, 0xe1, v50
	s_delay_alu instid0(VALU_DEP_2) | instskip(NEXT) | instid1(VALU_DEP_1)
	v_and_b32_e32 v13, 0xff, v64
	v_mul_lo_u16 v13, 0xcd, v13
	s_delay_alu instid0(VALU_DEP_1) | instskip(SKIP_2) | instid1(VALU_DEP_3)
	v_lshrrev_b16 v89, 10, v13
	v_sub_nc_u16 v13, v63, v39
	v_and_b32_e32 v39, 0xffff, v65
	v_mul_lo_u16 v40, v89, 5
	s_delay_alu instid0(VALU_DEP_3) | instskip(NEXT) | instid1(VALU_DEP_3)
	v_and_b32_e32 v90, 0xff, v13
	v_mul_u32_u24_e32 v13, 0xcccd, v39
	s_delay_alu instid0(VALU_DEP_3) | instskip(NEXT) | instid1(VALU_DEP_3)
	v_sub_nc_u16 v38, v64, v40
	v_lshlrev_b32_e32 v39, 5, v90
	s_delay_alu instid0(VALU_DEP_3)
	v_lshrrev_b32_e32 v13, 18, v13
	s_clause 0x1
	global_load_b128 v[76:79], v39, s[4:5]
	global_load_b128 v[80:83], v39, s[4:5] offset:16
	v_and_b32_e32 v66, 0xffff, v66
	v_and_b32_e32 v91, 0xff, v38
	v_lshlrev_b32_e32 v67, 3, v67
	v_mul_lo_u16 v13, v13, 5
	v_and_b32_e32 v89, 0xffff, v89
	v_mad_u32_u24 v66, 0xc8, v66, 0
	v_lshlrev_b32_e32 v38, 5, v91
	s_delay_alu instid0(VALU_DEP_2) | instskip(SKIP_4) | instid1(VALU_DEP_2)
	v_add3_u32 v66, v66, v67, v61
	v_lshlrev_b32_e32 v67, 3, v90
	s_wait_loadcnt_dscnt 0x305
	v_dual_mul_f32 v91, v71, v29 :: v_dual_lshlrev_b32 v90, 3, v91
	v_mul_f32_e32 v71, v71, v28
	v_fmac_f32_e32 v91, v70, v28
	s_delay_alu instid0(VALU_DEP_2)
	v_fma_f32 v28, v70, v29, -v71
	s_wait_loadcnt_dscnt 0x204
	v_dual_mul_f32 v29, v73, v31 :: v_dual_and_b32 v88, 0xffff, v88
	s_wait_dscnt 0x3
	v_mul_f32_e32 v70, v75, v16
	v_sub_nc_u16 v13, v65, v13
	s_delay_alu instid0(VALU_DEP_3) | instskip(SKIP_1) | instid1(VALU_DEP_1)
	v_fmac_f32_e32 v29, v72, v30
	v_mad_u32_u24 v88, 0xc8, v88, 0
	v_add3_u32 v67, v88, v67, v61
	v_mul_f32_e32 v88, v69, v35
	v_mul_f32_e32 v69, v69, v34
	s_delay_alu instid0(VALU_DEP_2) | instskip(NEXT) | instid1(VALU_DEP_2)
	v_fmac_f32_e32 v88, v68, v34
	v_fma_f32 v35, v68, v35, -v69
	v_dual_mul_f32 v68, v73, v30 :: v_dual_mul_f32 v69, v75, v17
	s_clause 0x1
	global_load_b128 v[84:87], v38, s[4:5]
	global_load_b128 v[46:49], v38, s[4:5] offset:16
	v_fma_f32 v30, v72, v31, -v68
	v_fma_f32 v31, v74, v17, -v70
	s_wait_loadcnt 0x3
	v_mul_f32_e32 v68, v77, v37
	v_and_b32_e32 v13, 0xffff, v13
	v_fmac_f32_e32 v69, v74, v16
	v_mul_f32_e32 v16, v77, v36
	s_wait_dscnt 0x1
	v_mul_f32_e32 v70, v79, v23
	v_fmac_f32_e32 v68, v76, v36
	v_lshlrev_b32_e32 v38, 5, v13
	s_clause 0x1
	global_load_b128 v[42:45], v38, s[4:5]
	global_load_b128 v[38:41], v38, s[4:5] offset:16
	v_mul_f32_e32 v17, v79, v22
	s_wait_loadcnt 0x4
	v_mul_f32_e32 v71, v81, v33
	v_fma_f32 v36, v76, v37, -v16
	v_mul_f32_e32 v16, v81, v32
	s_wait_dscnt 0x0
	v_mul_f32_e32 v72, v19, v83
	v_mul_f32_e32 v37, v18, v83
	v_fmac_f32_e32 v70, v78, v22
	v_fma_f32 v23, v78, v23, -v17
	v_fmac_f32_e32 v71, v80, v32
	v_fma_f32 v78, v80, v33, -v16
	v_mad_u32_u24 v89, 0xc8, v89, 0
	global_wb scope:SCOPE_SE
	s_wait_loadcnt 0x0
	s_barrier_signal -1
	s_barrier_wait -1
	global_inv scope:SCOPE_SE
	v_add3_u32 v34, v89, v90, v61
	v_dual_fmac_f32 v72, v18, v82 :: v_dual_mul_f32 v73, v27, v85
	v_mul_f32_e32 v76, v24, v87
	v_dual_mul_f32 v74, v26, v85 :: v_dual_mul_f32 v75, v25, v87
	v_mul_f32_e32 v77, v15, v47
	v_dual_mul_f32 v32, v14, v47 :: v_dual_mul_f32 v79, v21, v49
	v_mul_f32_e32 v33, v20, v49
	s_delay_alu instid0(VALU_DEP_4)
	v_fmac_f32_e32 v75, v24, v86
	v_fma_f32 v24, v25, v86, -v76
	v_sub_f32_e32 v86, v68, v72
	v_dual_mul_f32 v22, v5, v43 :: v_dual_mul_f32 v17, v11, v45
	v_dual_mul_f32 v16, v1, v39 :: v_dual_fmac_f32 v73, v26, v84
	v_mul_f32_e32 v26, v12, v39
	v_mul_f32_e32 v18, v57, v41
	v_fma_f32 v49, v19, v82, -v37
	s_delay_alu instid0(VALU_DEP_4)
	v_fmac_f32_e32 v16, v12, v38
	v_mul_f32_e32 v19, v4, v43
	v_dual_mul_f32 v37, v10, v45 :: v_dual_fmac_f32 v22, v4, v42
	v_fma_f32 v43, v27, v84, -v74
	v_mul_f32_e32 v27, v56, v41
	v_dual_fmac_f32 v77, v14, v46 :: v_dual_fmac_f32 v18, v56, v40
	v_fma_f32 v74, v15, v46, -v32
	v_fmac_f32_e32 v79, v20, v48
	v_fma_f32 v76, v21, v48, -v33
	v_dual_fmac_f32 v17, v10, v44 :: v_dual_sub_f32 v12, v88, v91
	v_fma_f32 v4, v1, v38, -v26
	v_add_f32_e32 v10, v54, v88
	v_fma_f32 v14, v5, v42, -v19
	v_fma_f32 v5, v11, v44, -v37
	v_dual_add_f32 v11, v91, v29 :: v_dual_add_f32 v32, v28, v30
	v_sub_f32_e32 v44, v35, v31
	v_fma_f32 v1, v57, v40, -v27
	v_sub_f32_e32 v15, v69, v29
	v_dual_add_f32 v20, v88, v69 :: v_dual_sub_f32 v21, v91, v88
	v_sub_f32_e32 v25, v29, v69
	v_dual_sub_f32 v33, v35, v28 :: v_dual_sub_f32 v84, v36, v49
	v_sub_f32_e32 v37, v31, v30
	v_add_f32_e32 v27, v55, v35
	v_add_f32_e32 v38, v35, v31
	v_sub_f32_e32 v35, v28, v35
	v_sub_f32_e32 v39, v30, v31
	v_dual_sub_f32 v19, v28, v30 :: v_dual_add_f32 v10, v10, v91
	v_sub_f32_e32 v45, v88, v69
	v_sub_f32_e32 v46, v91, v29
	v_fma_f32 v26, -0.5, v11, v54
	v_add_f32_e32 v80, v12, v15
	v_fma_f32 v54, -0.5, v20, v54
	v_dual_add_f32 v81, v21, v25 :: v_dual_sub_f32 v40, v23, v36
	v_dual_add_f32 v82, v33, v37 :: v_dual_add_f32 v11, v27, v28
	v_fma_f32 v27, -0.5, v32, v55
	v_dual_fmac_f32 v55, -0.5, v38 :: v_dual_add_f32 v42, v8, v73
	v_add_f32_e32 v12, v6, v68
	v_sub_f32_e32 v20, v68, v70
	v_add_f32_e32 v25, v68, v72
	v_sub_f32_e32 v28, v70, v68
	v_sub_f32_e32 v68, v75, v73
	v_sub_f32_e32 v32, v71, v72
	v_dual_add_f32 v83, v35, v39 :: v_dual_add_f32 v92, v24, v74
	v_dual_add_f32 v33, v7, v36 :: v_dual_sub_f32 v90, v77, v79
	v_dual_add_f32 v35, v23, v78 :: v_dual_add_f32 v98, v17, v16
	v_dual_sub_f32 v38, v49, v78 :: v_dual_add_f32 v39, v36, v49
	v_dual_add_f32 v30, v11, v30 :: v_dual_add_f32 v15, v70, v71
	v_sub_f32_e32 v88, v43, v76
	v_dual_sub_f32 v85, v23, v78 :: v_dual_sub_f32 v48, v73, v75
	v_dual_sub_f32 v21, v72, v71 :: v_dual_sub_f32 v56, v79, v77
	;; [unrolled: 1-line block ×3, first 2 shown]
	v_dual_sub_f32 v37, v36, v23 :: v_dual_add_f32 v96, v43, v76
	v_dual_sub_f32 v41, v78, v49 :: v_dual_add_f32 v70, v12, v70
	v_dual_add_f32 v47, v75, v77 :: v_dual_add_f32 v100, v28, v32
	v_add_f32_e32 v57, v73, v79
	s_delay_alu instid0(VALU_DEP_3)
	v_dual_add_f32 v91, v9, v43 :: v_dual_add_f32 v102, v40, v41
	v_dual_sub_f32 v93, v73, v79 :: v_dual_add_f32 v90, v68, v90
	v_dual_sub_f32 v73, v43, v24 :: v_dual_add_f32 v28, v33, v23
	v_sub_f32_e32 v43, v24, v43
	v_fma_f32 v33, -0.5, v35, v7
	v_fma_f32 v35, -0.5, v25, v6
	;; [unrolled: 1-line block ×3, first 2 shown]
	v_sub_f32_e32 v7, v17, v22
	v_sub_f32_e32 v25, v16, v18
	v_sub_f32_e32 v97, v74, v76
	v_sub_f32_e32 v89, v24, v74
	v_add_f32_e32 v29, v10, v29
	v_add_f32_e32 v99, v20, v21
	v_sub_f32_e32 v20, v22, v17
	v_fma_f32 v32, -0.5, v15, v6
	v_add_f32_e32 v101, v37, v38
	v_add_f32_e32 v75, v42, v75
	v_fma_f32 v37, -0.5, v47, v8
	v_fma_f32 v8, -0.5, v57, v8
	v_dual_sub_f32 v6, v22, v18 :: v_dual_add_f32 v57, v91, v24
	v_fma_f32 v38, -0.5, v92, v9
	v_sub_f32_e32 v42, v5, v14
	v_dual_add_f32 v24, v7, v25 :: v_dual_sub_f32 v15, v18, v16
	v_add_f32_e32 v92, v43, v97
	v_sub_f32_e32 v43, v4, v1
	v_dual_sub_f32 v10, v14, v1 :: v_dual_sub_f32 v11, v5, v4
	v_dual_sub_f32 v40, v14, v5 :: v_dual_sub_f32 v41, v1, v4
	v_add_f32_e32 v70, v70, v71
	v_dual_add_f32 v23, v20, v15 :: v_dual_fmamk_f32 v68, v89, 0x3f737871, v8
	v_add_f32_e32 v15, v42, v43
	s_delay_alu instid0(VALU_DEP_4) | instskip(SKIP_2) | instid1(VALU_DEP_3)
	v_dual_fmamk_f32 v42, v46, 0xbf737871, v55 :: v_dual_add_f32 v25, v40, v41
	v_dual_fmamk_f32 v40, v45, 0x3f737871, v27 :: v_dual_sub_f32 v95, v76, v74
	v_sub_f32_e32 v12, v17, v16
	v_fmac_f32_e32 v42, 0x3f167918, v45
	v_dual_fmamk_f32 v39, v44, 0xbf737871, v26 :: v_dual_add_f32 v74, v57, v74
	v_dual_fmac_f32 v26, 0x3f737871, v44 :: v_dual_add_f32 v21, v22, v18
	v_dual_add_f32 v47, v5, v4 :: v_dual_fmac_f32 v40, 0x3f167918, v46
	s_delay_alu instid0(VALU_DEP_2)
	v_dual_add_f32 v103, v48, v56 :: v_dual_fmac_f32 v26, 0x3f167918, v19
	v_add_f32_e32 v43, v14, v1
	v_add_f32_e32 v91, v73, v95
	v_dual_fmac_f32 v9, -0.5, v96 :: v_dual_fmamk_f32 v48, v87, 0xbf737871, v36
	v_dual_fmamk_f32 v41, v19, 0x3f737871, v54 :: v_dual_add_f32 v70, v70, v72
	v_fmac_f32_e32 v54, 0xbf737871, v19
	v_fmac_f32_e32 v55, 0x3f737871, v46
	v_fma_f32 v7, -0.5, v98, v2
	v_fma_f32 v20, -0.5, v47, v3
	v_fmac_f32_e32 v36, 0x3f737871, v87
	v_fmac_f32_e32 v39, 0xbf167918, v19
	v_fma_f32 v19, -0.5, v21, v2
	v_dual_add_f32 v73, v75, v77 :: v_dual_fmac_f32 v40, 0x3e9e377a, v82
	v_fmac_f32_e32 v27, 0xbf737871, v45
	v_fmac_f32_e32 v26, 0x3e9e377a, v80
	v_fma_f32 v21, -0.5, v43, v3
	s_delay_alu instid0(VALU_DEP_4)
	v_add_f32_e32 v72, v73, v79
	v_dual_add_f32 v43, v29, v69 :: v_dual_fmac_f32 v54, 0x3f167918, v44
	v_dual_fmac_f32 v27, 0xbf167918, v46 :: v_dual_fmac_f32 v68, 0xbf167918, v88
	v_fmamk_f32 v47, v85, 0x3f737871, v35
	v_dual_add_f32 v71, v28, v78 :: v_dual_fmac_f32 v8, 0xbf737871, v89
	v_fmamk_f32 v46, v86, 0x3f737871, v33
	v_fmac_f32_e32 v33, 0xbf737871, v86
	v_fmamk_f32 v56, v88, 0xbf737871, v37
	v_dual_fmac_f32 v41, 0xbf167918, v44 :: v_dual_add_f32 v44, v30, v31
	v_fmac_f32_e32 v37, 0x3f737871, v88
	v_dual_fmamk_f32 v57, v93, 0x3f737871, v38 :: v_dual_fmamk_f32 v30, v11, 0x3f737871, v19
	v_fmac_f32_e32 v38, 0xbf737871, v93
	v_fmac_f32_e32 v55, 0xbf167918, v45
	v_fmamk_f32 v45, v84, 0xbf737871, v32
	v_fmamk_f32 v69, v94, 0xbf737871, v9
	v_fmac_f32_e32 v9, 0x3f737871, v94
	v_fmac_f32_e32 v38, 0xbf167918, v94
	v_fmamk_f32 v28, v10, 0xbf737871, v7
	v_fmamk_f32 v29, v6, 0x3f737871, v20
	;; [unrolled: 1-line block ×3, first 2 shown]
	v_fmac_f32_e32 v32, 0x3f737871, v84
	v_fmac_f32_e32 v35, 0xbf737871, v85
	v_dual_fmac_f32 v45, 0xbf167918, v85 :: v_dual_fmac_f32 v28, 0xbf167918, v11
	v_dual_fmac_f32 v47, 0xbf167918, v84 :: v_dual_fmac_f32 v30, 0xbf167918, v10
	;; [unrolled: 1-line block ×3, first 2 shown]
	v_fmac_f32_e32 v9, 0xbf167918, v93
	v_fmac_f32_e32 v29, 0x3f167918, v12
	;; [unrolled: 1-line block ×3, first 2 shown]
	v_dual_add_f32 v71, v71, v49 :: v_dual_fmac_f32 v46, 0x3f167918, v87
	v_dual_fmac_f32 v32, 0x3f167918, v85 :: v_dual_fmac_f32 v35, 0x3f167918, v84
	v_fmac_f32_e32 v36, 0xbf167918, v86
	v_dual_fmac_f32 v39, 0x3e9e377a, v80 :: v_dual_fmac_f32 v54, 0x3e9e377a, v81
	v_dual_fmac_f32 v33, 0xbf167918, v87 :: v_dual_fmac_f32 v56, 0xbf167918, v89
	;; [unrolled: 1-line block ×3, first 2 shown]
	v_fmac_f32_e32 v69, 0x3f167918, v93
	v_dual_fmac_f32 v37, 0x3e9e377a, v103 :: v_dual_fmac_f32 v30, 0x3e9e377a, v24
	v_dual_fmac_f32 v9, 0x3e9e377a, v92 :: v_dual_fmac_f32 v28, 0x3e9e377a, v23
	v_fmac_f32_e32 v29, 0x3e9e377a, v25
	v_fmac_f32_e32 v31, 0x3e9e377a, v15
	v_dual_fmac_f32 v41, 0x3e9e377a, v81 :: v_dual_fmac_f32 v42, 0x3e9e377a, v83
	v_dual_fmac_f32 v55, 0x3e9e377a, v83 :: v_dual_fmac_f32 v46, 0x3e9e377a, v101
	;; [unrolled: 1-line block ×4, first 2 shown]
	v_dual_add_f32 v73, v74, v76 :: v_dual_fmac_f32 v48, 0x3e9e377a, v102
	v_dual_fmac_f32 v47, 0x3e9e377a, v100 :: v_dual_fmac_f32 v56, 0x3e9e377a, v103
	v_dual_fmac_f32 v35, 0x3e9e377a, v100 :: v_dual_fmac_f32 v68, 0x3e9e377a, v90
	;; [unrolled: 1-line block ×3, first 2 shown]
	v_fmac_f32_e32 v57, 0x3e9e377a, v91
	v_dual_fmac_f32 v38, 0x3e9e377a, v91 :: v_dual_fmac_f32 v69, 0x3e9e377a, v92
	ds_store_2addr_b64 v66, v[43:44], v[39:40] offset1:5
	ds_store_2addr_b64 v66, v[41:42], v[54:55] offset0:10 offset1:15
	ds_store_b64 v66, v[26:27] offset:160
	ds_store_2addr_b64 v67, v[70:71], v[45:46] offset1:5
	ds_store_2addr_b64 v67, v[47:48], v[35:36] offset0:10 offset1:15
	ds_store_b64 v67, v[32:33] offset:160
	;; [unrolled: 3-line block ×3, first 2 shown]
	s_and_saveexec_b32 s1, s0
	s_cbranch_execz .LBB0_22
; %bb.21:
	v_dual_mul_f32 v26, 0x3f737871, v6 :: v_dual_mul_f32 v27, 0x3f737871, v12
	v_dual_add_f32 v3, v3, v14 :: v_dual_and_b32 v32, 0xff, v65
	v_mul_f32_e32 v8, 0x3f737871, v10
	v_dual_mul_f32 v9, 0x3f167918, v11 :: v_dual_mul_f32 v10, 0x3f167918, v10
	v_mul_f32_e32 v11, 0x3f737871, v11
	v_dual_mul_f32 v12, 0x3f167918, v12 :: v_dual_add_f32 v21, v27, v21
	v_dual_mul_f32 v25, 0x3e9e377a, v25 :: v_dual_sub_f32 v20, v20, v26
	v_dual_mul_f32 v6, 0x3f167918, v6 :: v_dual_add_f32 v3, v3, v5
	v_mul_lo_u16 v26, 0xcd, v32
	s_delay_alu instid0(VALU_DEP_3) | instskip(NEXT) | instid1(VALU_DEP_3)
	v_dual_mul_f32 v15, 0x3e9e377a, v15 :: v_dual_sub_f32 v12, v20, v12
	v_dual_sub_f32 v6, v21, v6 :: v_dual_add_f32 v3, v3, v4
	s_delay_alu instid0(VALU_DEP_3) | instskip(SKIP_1) | instid1(VALU_DEP_4)
	v_lshrrev_b16 v20, 10, v26
	v_dual_sub_f32 v4, v19, v11 :: v_dual_lshlrev_b32 v11, 3, v13
	v_dual_add_f32 v14, v2, v22 :: v_dual_add_f32 v5, v25, v12
	v_dual_mul_f32 v23, 0x3e9e377a, v23 :: v_dual_mul_f32 v24, 0x3e9e377a, v24
	s_delay_alu instid0(VALU_DEP_4) | instskip(SKIP_3) | instid1(VALU_DEP_3)
	v_and_b32_e32 v12, 0xffff, v20
	v_add_f32_e32 v7, v7, v8
	v_add_f32_e32 v2, v15, v6
	;; [unrolled: 1-line block ×3, first 2 shown]
	v_dual_add_f32 v6, v14, v17 :: v_dual_add_f32 v9, v9, v7
	v_add_f32_e32 v7, v3, v1
	s_delay_alu instid0(VALU_DEP_3) | instskip(NEXT) | instid1(VALU_DEP_3)
	v_add_f32_e32 v1, v24, v4
	v_add_f32_e32 v6, v6, v16
	v_mad_u32_u24 v8, 0xc8, v12, 0
	v_add_f32_e32 v4, v23, v9
	s_delay_alu instid0(VALU_DEP_3) | instskip(NEXT) | instid1(VALU_DEP_3)
	v_add_f32_e32 v6, v6, v18
	v_add3_u32 v3, v8, v11, v61
	ds_store_2addr_b64 v3, v[6:7], v[28:29] offset1:5
	ds_store_2addr_b64 v3, v[30:31], v[1:2] offset0:10 offset1:15
	ds_store_b64 v3, v[4:5] offset:160
.LBB0_22:
	s_wait_alu 0xfffe
	s_or_b32 exec_lo, exec_lo, s1
	v_mul_lo_u16 v0, v0, 41
	global_wb scope:SCOPE_SE
	s_wait_dscnt 0x0
	s_barrier_signal -1
	s_barrier_wait -1
	global_inv scope:SCOPE_SE
	v_lshrrev_b16 v27, 10, v0
	v_cmp_gt_u32_e64 s0, 25, v50
	s_delay_alu instid0(VALU_DEP_2) | instskip(NEXT) | instid1(VALU_DEP_1)
	v_mul_lo_u16 v0, v27, 25
	v_sub_nc_u16 v0, v50, v0
	s_delay_alu instid0(VALU_DEP_1) | instskip(NEXT) | instid1(VALU_DEP_1)
	v_and_b32_e32 v49, 0xff, v0
	v_mul_u32_u24_e32 v0, 15, v49
	s_delay_alu instid0(VALU_DEP_1)
	v_lshlrev_b32_e32 v4, 3, v0
	s_clause 0x7
	global_load_b128 v[0:3], v4, s[4:5] offset:160
	global_load_b128 v[7:10], v4, s[4:5] offset:176
	;; [unrolled: 1-line block ×7, first 2 shown]
	global_load_b64 v[36:37], v4, s[4:5] offset:272
	ds_load_2addr_b64 v[39:42], v51 offset0:75 offset1:150
	v_add_nc_u32_e32 v4, 0x400, v51
	v_add_nc_u32_e32 v38, 0x800, v51
	ds_load_b64 v[47:48], v60
	ds_load_b64 v[82:83], v51 offset:9000
	s_wait_loadcnt_dscnt 0x702
	v_dual_mul_f32 v86, v1, v40 :: v_dual_add_nc_u32 v5, 0x1000, v51
	v_mul_f32_e32 v87, v3, v42
	ds_load_2addr_b64 v[43:46], v4 offset0:97 offset1:172
	v_mul_f32_e32 v3, v3, v41
	ds_load_2addr_b64 v[54:57], v38 offset0:119 offset1:194
	v_add_nc_u32_e32 v6, 0x1800, v51
	v_add_nc_u32_e32 v78, 0x1c00, v51
	v_and_b32_e32 v27, 0xffff, v27
	v_mul_f32_e32 v1, v1, v39
	v_add_nc_u32_e32 v85, 0x2000, v51
	v_fmac_f32_e32 v87, v2, v41
	s_wait_loadcnt_dscnt 0x601
	v_mul_f32_e32 v89, v46, v10
	v_mul_f32_e32 v10, v45, v10
	s_wait_loadcnt_dscnt 0x500
	v_mul_f32_e32 v91, v57, v14
	ds_load_2addr_b64 v[66:69], v5 offset0:13 offset1:88
	ds_load_2addr_b64 v[70:73], v5 offset0:163 offset1:238
	;; [unrolled: 1-line block ×4, first 2 shown]
	v_mul_f32_e32 v88, v8, v44
	v_mad_u32_u24 v27, 0xc80, v27, 0
	v_dual_mul_f32 v8, v8, v43 :: v_dual_lshlrev_b32 v49, 3, v49
	v_mul_f32_e32 v90, v55, v12
	v_add_nc_u32_e32 v84, 0x1400, v51
	v_mul_f32_e32 v12, v54, v12
	v_mul_f32_e32 v14, v56, v14
	v_add3_u32 v27, v27, v49, v61
	v_dual_fmac_f32 v88, v7, v43 :: v_dual_fmac_f32 v91, v56, v13
	v_fmac_f32_e32 v89, v45, v9
	global_wb scope:SCOPE_SE
	s_wait_loadcnt_dscnt 0x0
	v_add_nc_u32_e32 v49, 0x400, v27
	v_add_nc_u32_e32 v61, 0x800, v27
	s_barrier_signal -1
	v_dual_mul_f32 v93, v69, v18 :: v_dual_mul_f32 v94, v71, v20
	v_dual_mul_f32 v20, v70, v20 :: v_dual_mul_f32 v99, v81, v35
	;; [unrolled: 1-line block ×6, first 2 shown]
	v_mul_f32_e32 v96, v75, v24
	v_mul_f32_e32 v24, v74, v24
	v_dual_fmac_f32 v90, v54, v11 :: v_dual_fmac_f32 v93, v68, v17
	v_dual_fmac_f32 v99, v80, v34 :: v_dual_fmac_f32 v98, v78, v32
	v_fmac_f32_e32 v86, v0, v39
	v_fma_f32 v0, v0, v40, -v1
	v_fma_f32 v1, v2, v42, -v3
	;; [unrolled: 1-line block ×5, first 2 shown]
	v_mul_f32_e32 v100, v83, v37
	v_dual_mul_f32 v22, v72, v22 :: v_dual_mul_f32 v37, v82, v37
	v_fma_f32 v3, v46, v9, -v10
	v_fma_f32 v8, v57, v13, -v14
	v_dual_fmac_f32 v92, v66, v15 :: v_dual_fmac_f32 v95, v72, v21
	v_fma_f32 v9, v67, v15, -v16
	v_fma_f32 v10, v69, v17, -v18
	v_dual_fmac_f32 v94, v70, v19 :: v_dual_fmac_f32 v97, v76, v25
	v_mul_f32_e32 v26, v76, v26
	v_fma_f32 v13, v75, v23, -v24
	v_fma_f32 v15, v79, v32, -v33
	v_sub_f32_e32 v11, v0, v11
	v_dual_sub_f32 v19, v89, v97 :: v_dual_fmac_f32 v100, v82, v36
	v_fma_f32 v14, v77, v25, -v26
	s_delay_alu instid0(VALU_DEP_4)
	v_sub_f32_e32 v15, v7, v15
	v_fmac_f32_e32 v96, v74, v23
	v_fma_f32 v17, v83, v36, -v37
	v_sub_f32_e32 v25, v92, v100
	v_dual_sub_f32 v10, v48, v10 :: v_dual_sub_f32 v13, v2, v13
	v_fma_f32 v12, v73, v21, -v22
	s_delay_alu instid0(VALU_DEP_4)
	v_dual_sub_f32 v14, v3, v14 :: v_dual_sub_f32 v17, v9, v17
	v_sub_f32_e32 v21, v91, v99
	v_dual_sub_f32 v23, v90, v98 :: v_dual_sub_f32 v24, v88, v96
	v_fma_f32 v40, v92, 2.0, -v25
	v_dual_sub_f32 v25, v13, v25 :: v_dual_sub_f32 v22, v86, v94
	v_fma_f32 v16, v81, v34, -v35
	v_sub_f32_e32 v18, v47, v93
	v_fma_f32 v7, v7, 2.0, -v15
	v_fma_f32 v9, v9, 2.0, -v17
	v_dual_add_f32 v17, v24, v17 :: v_dual_sub_f32 v12, v1, v12
	v_add_f32_e32 v15, v22, v15
	v_sub_f32_e32 v20, v87, v95
	v_sub_f32_e32 v16, v8, v16
	v_fma_f32 v32, v48, 2.0, -v10
	v_fma_f32 v33, v89, 2.0, -v19
	;; [unrolled: 1-line block ×7, first 2 shown]
	v_sub_f32_e32 v23, v11, v23
	v_fma_f32 v2, v2, 2.0, -v13
	v_sub_f32_e32 v19, v10, v19
	v_fma_f32 v26, v47, 2.0, -v18
	v_sub_f32_e32 v21, v12, v21
	v_fma_f32 v34, v87, 2.0, -v20
	v_fma_f32 v1, v1, 2.0, -v12
	v_fma_f32 v8, v8, 2.0, -v16
	;; [unrolled: 1-line block ×3, first 2 shown]
	v_dual_add_f32 v14, v18, v14 :: v_dual_sub_f32 v3, v32, v3
	v_dual_add_f32 v16, v20, v16 :: v_dual_sub_f32 v33, v26, v33
	s_delay_alu instid0(VALU_DEP_4) | instskip(NEXT) | instid1(VALU_DEP_4)
	v_dual_sub_f32 v35, v34, v35 :: v_dual_sub_f32 v8, v1, v8
	v_dual_sub_f32 v37, v36, v37 :: v_dual_sub_f32 v40, v39, v40
	v_dual_sub_f32 v7, v0, v7 :: v_dual_fmamk_f32 v42, v21, 0x3f3504f3, v19
	v_dual_sub_f32 v9, v2, v9 :: v_dual_fmamk_f32 v44, v25, 0x3f3504f3, v23
	v_fma_f32 v18, v18, 2.0, -v14
	v_fma_f32 v10, v10, 2.0, -v19
	;; [unrolled: 1-line block ×6, first 2 shown]
	v_fmamk_f32 v41, v16, 0x3f3504f3, v14
	v_fma_f32 v26, v26, 2.0, -v33
	v_fma_f32 v45, v32, 2.0, -v3
	;; [unrolled: 1-line block ×8, first 2 shown]
	v_fmamk_f32 v43, v17, 0x3f3504f3, v15
	v_fma_f32 v1, v1, 2.0, -v8
	v_fma_f32 v0, v39, 2.0, -v40
	v_dual_sub_f32 v40, v7, v40 :: v_dual_fmamk_f32 v39, v20, 0xbf3504f3, v18
	v_fmamk_f32 v48, v13, 0xbf3504f3, v11
	v_dual_fmamk_f32 v46, v12, 0xbf3504f3, v10 :: v_dual_add_f32 v47, v33, v8
	v_dual_sub_f32 v35, v3, v35 :: v_dual_fmac_f32 v42, 0xbf3504f3, v16
	v_add_f32_e32 v16, v37, v9
	v_fmac_f32_e32 v41, 0x3f3504f3, v21
	v_dual_fmac_f32 v44, 0xbf3504f3, v17 :: v_dual_sub_f32 v17, v26, v32
	v_dual_sub_f32 v9, v36, v2 :: v_dual_fmac_f32 v48, 0xbf3504f3, v24
	v_fmac_f32_e32 v39, 0x3f3504f3, v12
	v_fmac_f32_e32 v46, 0xbf3504f3, v20
	v_fma_f32 v54, v33, 2.0, -v47
	v_fma_f32 v55, v3, 2.0, -v35
	;; [unrolled: 1-line block ×3, first 2 shown]
	v_sub_f32_e32 v12, v34, v0
	v_fma_f32 v56, v14, 2.0, -v41
	v_fma_f32 v19, v37, 2.0, -v16
	;; [unrolled: 1-line block ×3, first 2 shown]
	v_fmamk_f32 v0, v16, 0x3f3504f3, v47
	v_fma_f32 v14, v36, 2.0, -v9
	v_add_f32_e32 v9, v17, v9
	v_fmac_f32_e32 v43, 0x3f3504f3, v25
	v_sub_f32_e32 v25, v45, v1
	v_fmamk_f32 v21, v24, 0xbf3504f3, v22
	v_fma_f32 v66, v10, 2.0, -v46
	v_dual_fmamk_f32 v2, v19, 0xbf3504f3, v54 :: v_dual_fmamk_f32 v3, v20, 0xbf3504f3, v55
	s_delay_alu instid0(VALU_DEP_4) | instskip(NEXT) | instid1(VALU_DEP_4)
	v_fma_f32 v37, v45, 2.0, -v25
	v_dual_sub_f32 v10, v25, v12 :: v_dual_fmac_f32 v21, 0x3f3504f3, v13
	s_delay_alu instid0(VALU_DEP_3)
	v_fmac_f32_e32 v2, 0x3f3504f3, v20
	v_fma_f32 v23, v23, 2.0, -v44
	v_fmac_f32_e32 v0, 0x3f3504f3, v40
	v_fma_f32 v24, v15, 2.0, -v43
	v_fmamk_f32 v1, v40, 0x3f3504f3, v35
	v_dual_fmamk_f32 v32, v43, 0x3f6c835e, v41 :: v_dual_fmamk_f32 v33, v44, 0x3f6c835e, v42
	v_fma_f32 v13, v34, 2.0, -v12
	v_fma_f32 v34, v22, 2.0, -v21
	;; [unrolled: 1-line block ×3, first 2 shown]
	v_sub_f32_e32 v14, v37, v14
	v_fma_f32 v45, v18, 2.0, -v39
	v_fma_f32 v26, v26, 2.0, -v17
	v_dual_fmamk_f32 v7, v24, 0xbec3ef15, v56 :: v_dual_fmamk_f32 v8, v23, 0xbec3ef15, v57
	v_dual_fmamk_f32 v11, v21, 0x3ec3ef15, v39 :: v_dual_fmamk_f32 v12, v48, 0x3ec3ef15, v46
	v_fmac_f32_e32 v1, 0xbf3504f3, v16
	s_delay_alu instid0(VALU_DEP_4)
	v_dual_fmac_f32 v32, 0x3ec3ef15, v44 :: v_dual_sub_f32 v13, v26, v13
	v_dual_fmamk_f32 v15, v34, 0xbf6c835e, v45 :: v_dual_fmamk_f32 v16, v36, 0xbf6c835e, v66
	v_fmac_f32_e32 v33, 0xbec3ef15, v43
	v_fmac_f32_e32 v3, 0xbf3504f3, v19
	;; [unrolled: 1-line block ×7, first 2 shown]
	v_fma_f32 v19, v47, 2.0, -v0
	v_fma_f32 v20, v35, 2.0, -v1
	;; [unrolled: 1-line block ×4, first 2 shown]
	v_fmac_f32_e32 v15, 0x3ec3ef15, v36
	s_barrier_wait -1
	global_inv scope:SCOPE_SE
	v_fma_f32 v18, v25, 2.0, -v10
	ds_store_2addr_b64 v61, v[0:1], v[32:33] offset0:94 offset1:119
	v_fma_f32 v0, v26, 2.0, -v13
	v_fma_f32 v23, v54, 2.0, -v2
	;; [unrolled: 1-line block ×9, first 2 shown]
	ds_store_2addr_b64 v27, v[19:20], v[21:22] offset0:150 offset1:175
	ds_store_2addr_b64 v49, v[2:3], v[7:8] offset0:122 offset1:147
	v_fma_f32 v2, v45, 2.0, -v15
	v_fma_f32 v3, v66, 2.0, -v16
	ds_store_2addr_b64 v61, v[9:10], v[11:12] offset0:44 offset1:69
	ds_store_2addr_b64 v27, v[23:24], v[25:26] offset0:50 offset1:75
	;; [unrolled: 1-line block ×4, first 2 shown]
	ds_store_2addr_b64 v27, v[0:1], v[2:3] offset1:25
	global_wb scope:SCOPE_SE
	s_wait_dscnt 0x0
	s_barrier_signal -1
	s_barrier_wait -1
	global_inv scope:SCOPE_SE
	ds_load_b64 v[34:35], v60
	ds_load_2addr_b64 v[24:27], v38 offset0:144 offset1:219
	ds_load_2addr_b64 v[8:11], v84 offset0:60 offset1:160
	;; [unrolled: 1-line block ×7, first 2 shown]
	s_and_saveexec_b32 s1, s0
	s_cbranch_execz .LBB0_24
; %bb.23:
	ds_load_b64 v[32:33], v51 offset:3000
	ds_load_b64 v[28:29], v51 offset:6200
	;; [unrolled: 1-line block ×3, first 2 shown]
.LBB0_24:
	s_wait_alu 0xfffe
	s_or_b32 exec_lo, exec_lo, s1
	v_dual_mov_b32 v37, 0 :: v_dual_lshlrev_b32 v36, 1, v50
	v_lshlrev_b32_e32 v41, 1, v63
	v_lshlrev_b32_e32 v43, 1, v64
	s_delay_alu instid0(VALU_DEP_3) | instskip(NEXT) | instid1(VALU_DEP_4)
	v_dual_mov_b32 v48, v37 :: v_dual_lshlrev_b32 v47, 1, v65
	v_lshlrev_b64_e32 v[39:40], 3, v[36:37]
	v_mov_b32_e32 v42, v37
	v_mov_b32_e32 v44, v37
	s_delay_alu instid0(VALU_DEP_4) | instskip(NEXT) | instid1(VALU_DEP_4)
	v_lshlrev_b64_e32 v[47:48], 3, v[47:48]
	v_add_co_u32 v39, s1, s4, v39
	s_wait_alu 0xf1ff
	v_add_co_ci_u32_e64 v40, s1, s5, v40, s1
	v_lshlrev_b64_e32 v[45:46], 3, v[41:42]
	v_lshlrev_b64_e32 v[43:44], 3, v[43:44]
	global_load_b128 v[39:42], v[39:40], off offset:3160
	v_add_nc_u32_e32 v36, 0x258, v36
	v_add_co_u32 v45, s1, s4, v45
	s_wait_alu 0xf1ff
	v_add_co_ci_u32_e64 v46, s1, s5, v46, s1
	v_add_co_u32 v54, s1, s4, v43
	v_lshlrev_b64_e32 v[60:61], 3, v[36:37]
	s_wait_alu 0xf1ff
	v_add_co_ci_u32_e64 v55, s1, s5, v44, s1
	v_add_co_u32 v47, s1, s4, v47
	s_wait_alu 0xf1ff
	v_add_co_ci_u32_e64 v48, s1, s5, v48, s1
	v_add_co_u32 v60, s1, s4, v60
	s_wait_alu 0xf1ff
	v_add_co_ci_u32_e64 v61, s1, s5, v61, s1
	s_clause 0x3
	global_load_b128 v[43:46], v[45:46], off offset:3160
	global_load_b128 v[54:57], v[54:55], off offset:3160
	;; [unrolled: 1-line block ×4, first 2 shown]
	v_lshl_add_u32 v36, v59, 3, v62
	global_wb scope:SCOPE_SE
	s_wait_loadcnt_dscnt 0x0
	s_barrier_signal -1
	s_barrier_wait -1
	global_inv scope:SCOPE_SE
	v_add_nc_u32_e32 v47, 0xc00, v36
	v_add_nc_u32_e32 v49, 0x1000, v36
	;; [unrolled: 1-line block ×3, first 2 shown]
	v_dual_mul_f32 v59, v40, v25 :: v_dual_add_nc_u32 v36, 0x2000, v36
	v_mul_f32_e32 v40, v40, v24
	v_mul_f32_e32 v60, v42, v11
	s_delay_alu instid0(VALU_DEP_3) | instskip(NEXT) | instid1(VALU_DEP_3)
	v_dual_mul_f32 v42, v42, v10 :: v_dual_fmac_f32 v59, v39, v24
	v_fma_f32 v24, v39, v25, -v40
	s_delay_alu instid0(VALU_DEP_3) | instskip(NEXT) | instid1(VALU_DEP_3)
	v_fmac_f32_e32 v60, v41, v10
	v_fma_f32 v10, v41, v11, -v42
	v_mul_f32_e32 v11, v44, v27
	v_mul_f32_e32 v25, v44, v26
	;; [unrolled: 1-line block ×3, first 2 shown]
	v_dual_mul_f32 v40, v46, v20 :: v_dual_mul_f32 v41, v55, v17
	v_dual_mul_f32 v42, v55, v16 :: v_dual_mul_f32 v55, v64, v19
	v_mul_f32_e32 v44, v57, v23
	s_delay_alu instid0(VALU_DEP_3)
	v_dual_mul_f32 v46, v57, v22 :: v_dual_fmac_f32 v41, v54, v16
	v_mul_f32_e32 v57, v64, v18
	v_mul_f32_e32 v61, v13, v66
	v_dual_mul_f32 v62, v12, v66 :: v_dual_fmac_f32 v39, v45, v20
	v_dual_mul_f32 v64, v9, v68 :: v_dual_fmac_f32 v11, v43, v26
	v_mul_f32_e32 v66, v8, v68
	s_delay_alu instid0(VALU_DEP_4)
	v_dual_mul_f32 v68, v15, v70 :: v_dual_fmac_f32 v61, v12, v65
	v_mul_f32_e32 v70, v14, v70
	v_fma_f32 v25, v43, v27, -v25
	v_fma_f32 v20, v45, v21, -v40
	;; [unrolled: 1-line block ×4, first 2 shown]
	v_dual_fmac_f32 v55, v63, v18 :: v_dual_fmac_f32 v64, v8, v67
	v_fma_f32 v12, v9, v67, -v66
	v_fmac_f32_e32 v68, v14, v69
	v_dual_add_f32 v8, v34, v59 :: v_dual_add_f32 v9, v59, v60
	v_fma_f32 v21, v15, v69, -v70
	v_add_f32_e32 v15, v24, v10
	v_fmac_f32_e32 v44, v56, v22
	v_dual_add_f32 v14, v35, v24 :: v_dual_add_f32 v27, v2, v41
	v_fma_f32 v18, v63, v19, -v57
	v_fma_f32 v19, v13, v65, -v62
	v_dual_sub_f32 v13, v24, v10 :: v_dual_sub_f32 v22, v59, v60
	v_add_f32_e32 v8, v8, v60
	v_fma_f32 v34, -0.5, v9, v34
	v_add_f32_e32 v9, v14, v10
	v_fmac_f32_e32 v35, -0.5, v15
	v_add_f32_e32 v15, v11, v39
	v_dual_add_f32 v14, v0, v11 :: v_dual_sub_f32 v23, v25, v20
	v_dual_add_f32 v24, v1, v25 :: v_dual_add_f32 v43, v3, v16
	v_dual_add_f32 v25, v25, v20 :: v_dual_sub_f32 v26, v11, v39
	v_dual_add_f32 v40, v41, v44 :: v_dual_add_f32 v45, v4, v55
	v_dual_sub_f32 v42, v16, v17 :: v_dual_sub_f32 v41, v41, v44
	v_dual_add_f32 v16, v16, v17 :: v_dual_add_f32 v57, v6, v64
	v_dual_add_f32 v46, v55, v61 :: v_dual_add_f32 v59, v64, v68
	v_dual_sub_f32 v54, v18, v19 :: v_dual_sub_f32 v55, v55, v61
	v_dual_add_f32 v56, v5, v18 :: v_dual_add_f32 v63, v12, v21
	v_add_f32_e32 v18, v18, v19
	v_add_f32_e32 v62, v7, v12
	v_fmamk_f32 v10, v13, 0xbf5db3d7, v34
	v_dual_fmac_f32 v34, 0x3f5db3d7, v13 :: v_dual_fmac_f32 v3, -0.5, v16
	v_fma_f32 v0, -0.5, v15, v0
	v_fma_f32 v1, -0.5, v25, v1
	;; [unrolled: 1-line block ×3, first 2 shown]
	v_dual_sub_f32 v60, v12, v21 :: v_dual_fmamk_f32 v11, v22, 0x3f5db3d7, v35
	v_dual_sub_f32 v64, v64, v68 :: v_dual_add_f32 v15, v43, v17
	v_dual_fmac_f32 v35, 0xbf5db3d7, v22 :: v_dual_add_f32 v16, v45, v61
	v_fmac_f32_e32 v7, -0.5, v63
	v_fma_f32 v4, -0.5, v46, v4
	v_fma_f32 v5, -0.5, v18, v5
	;; [unrolled: 1-line block ×3, first 2 shown]
	v_dual_add_f32 v12, v14, v39 :: v_dual_add_f32 v13, v24, v20
	v_dual_add_f32 v14, v27, v44 :: v_dual_add_f32 v17, v56, v19
	;; [unrolled: 1-line block ×3, first 2 shown]
	v_fmamk_f32 v21, v26, 0x3f5db3d7, v1
	v_fmamk_f32 v20, v23, 0xbf5db3d7, v0
	v_dual_fmac_f32 v0, 0x3f5db3d7, v23 :: v_dual_fmamk_f32 v23, v41, 0x3f5db3d7, v3
	v_dual_fmamk_f32 v22, v42, 0xbf5db3d7, v2 :: v_dual_fmac_f32 v1, 0xbf5db3d7, v26
	v_dual_fmac_f32 v2, 0x3f5db3d7, v42 :: v_dual_fmamk_f32 v25, v55, 0x3f5db3d7, v5
	v_dual_fmac_f32 v3, 0xbf5db3d7, v41 :: v_dual_fmamk_f32 v24, v54, 0xbf5db3d7, v4
	;; [unrolled: 1-line block ×4, first 2 shown]
	v_fmac_f32_e32 v6, 0x3f5db3d7, v60
	v_fmac_f32_e32 v7, 0xbf5db3d7, v64
	ds_store_b64 v51, v[34:35] offset:6400
	ds_store_2addr_b64 v51, v[8:9], v[12:13] offset1:75
	ds_store_2addr_b64 v51, v[14:15], v[16:17] offset0:150 offset1:225
	ds_store_2addr_b64 v38, v[18:19], v[10:11] offset0:44 offset1:144
	;; [unrolled: 1-line block ×6, first 2 shown]
	s_and_saveexec_b32 s1, s0
	s_cbranch_execz .LBB0_26
; %bb.25:
	v_mov_b32_e32 v0, 0x177
	s_delay_alu instid0(VALU_DEP_1) | instskip(NEXT) | instid1(VALU_DEP_1)
	v_cndmask_b32_e64 v0, 0xffffffe7, v0, s0
	v_add_lshl_u32 v36, v50, v0, 1
	s_delay_alu instid0(VALU_DEP_1) | instskip(NEXT) | instid1(VALU_DEP_1)
	v_lshlrev_b64_e32 v[0:1], 3, v[36:37]
	v_add_co_u32 v0, s0, s4, v0
	s_wait_alu 0xf1ff
	s_delay_alu instid0(VALU_DEP_2) | instskip(SKIP_4) | instid1(VALU_DEP_1)
	v_add_co_ci_u32_e64 v1, s0, s5, v1, s0
	global_load_b128 v[0:3], v[0:1], off offset:3160
	s_wait_loadcnt 0x0
	v_mul_f32_e32 v5, v30, v3
	v_mul_f32_e32 v6, v31, v3
	v_fmac_f32_e32 v6, v30, v2
	v_mul_f32_e32 v4, v28, v1
	v_mul_f32_e32 v1, v29, v1
	s_delay_alu instid0(VALU_DEP_1) | instskip(NEXT) | instid1(VALU_DEP_1)
	v_fmac_f32_e32 v1, v28, v0
	v_sub_f32_e32 v7, v1, v6
	s_delay_alu instid0(VALU_DEP_4) | instskip(SKIP_1) | instid1(VALU_DEP_1)
	v_fma_f32 v3, v29, v0, -v4
	v_fma_f32 v4, v31, v2, -v5
	v_dual_add_f32 v5, v33, v3 :: v_dual_add_f32 v0, v3, v4
	v_dual_add_f32 v2, v1, v6 :: v_dual_sub_f32 v9, v3, v4
	s_delay_alu instid0(VALU_DEP_2) | instskip(NEXT) | instid1(VALU_DEP_3)
	v_dual_add_f32 v8, v32, v1 :: v_dual_add_f32 v3, v5, v4
	v_fma_f32 v1, -0.5, v0, v33
	s_delay_alu instid0(VALU_DEP_3) | instskip(NEXT) | instid1(VALU_DEP_2)
	v_fma_f32 v0, -0.5, v2, v32
	v_dual_add_f32 v2, v8, v6 :: v_dual_fmamk_f32 v5, v7, 0xbf5db3d7, v1
	s_delay_alu instid0(VALU_DEP_2)
	v_dual_fmac_f32 v1, 0x3f5db3d7, v7 :: v_dual_fmamk_f32 v4, v9, 0x3f5db3d7, v0
	v_fmac_f32_e32 v0, 0xbf5db3d7, v9
	ds_store_b64 v51, v[2:3] offset:3000
	ds_store_b64 v51, v[0:1] offset:6200
	ds_store_b64 v51, v[4:5] offset:9400
.LBB0_26:
	s_wait_alu 0xfffe
	s_or_b32 exec_lo, exec_lo, s1
	global_wb scope:SCOPE_SE
	s_wait_dscnt 0x0
	s_barrier_signal -1
	s_barrier_wait -1
	global_inv scope:SCOPE_SE
	s_and_saveexec_b32 s0, vcc_lo
	s_cbranch_execz .LBB0_28
; %bb.27:
	v_dual_mov_b32 v51, 0 :: v_dual_add_nc_u32 v6, 0x4b, v50
	v_lshl_add_u32 v28, v50, 3, v58
	v_add_co_u32 v32, vcc_lo, s8, v52
	s_delay_alu instid0(VALU_DEP_3)
	v_lshlrev_b64_e32 v[4:5], 3, v[50:51]
	s_wait_alu 0xfffd
	v_add_co_ci_u32_e32 v33, vcc_lo, s9, v53, vcc_lo
	v_dual_mov_b32 v7, v51 :: v_dual_add_nc_u32 v8, 0x96, v50
	ds_load_2addr_b64 v[0:3], v28 offset1:75
	v_add_co_u32 v10, vcc_lo, v32, v4
	v_dual_mov_b32 v9, v51 :: v_dual_add_nc_u32 v14, 0xe1, v50
	s_wait_alu 0xfffd
	v_add_co_ci_u32_e32 v11, vcc_lo, v33, v5, vcc_lo
	v_lshlrev_b64_e32 v[12:13], 3, v[6:7]
	ds_load_2addr_b64 v[4:7], v28 offset0:150 offset1:225
	v_dual_mov_b32 v15, v51 :: v_dual_add_nc_u32 v16, 0x12c, v50
	v_lshlrev_b64_e32 v[8:9], 3, v[8:9]
	v_dual_mov_b32 v17, v51 :: v_dual_add_nc_u32 v18, 0x800, v28
	v_add_co_u32 v12, vcc_lo, v32, v12
	s_delay_alu instid0(VALU_DEP_4)
	v_lshlrev_b64_e32 v[14:15], 3, v[14:15]
	s_wait_alu 0xfffd
	v_add_co_ci_u32_e32 v13, vcc_lo, v33, v13, vcc_lo
	v_add_co_u32 v8, vcc_lo, v32, v8
	s_wait_alu 0xfffd
	v_add_co_ci_u32_e32 v9, vcc_lo, v33, v9, vcc_lo
	v_add_co_u32 v14, vcc_lo, v32, v14
	s_wait_alu 0xfffd
	v_add_co_ci_u32_e32 v15, vcc_lo, v33, v15, vcc_lo
	s_wait_dscnt 0x1
	s_clause 0x1
	global_store_b64 v[10:11], v[0:1], off
	global_store_b64 v[12:13], v[2:3], off
	s_wait_dscnt 0x0
	s_clause 0x1
	global_store_b64 v[8:9], v[4:5], off
	global_store_b64 v[14:15], v[6:7], off
	v_lshlrev_b64_e32 v[4:5], 3, v[16:17]
	v_dual_mov_b32 v7, v51 :: v_dual_add_nc_u32 v6, 0x177, v50
	v_dual_mov_b32 v15, v51 :: v_dual_add_nc_u32 v14, 0xc00, v28
	ds_load_2addr_b64 v[0:3], v18 offset0:44 offset1:119
	v_add_co_u32 v10, vcc_lo, v32, v4
	v_dual_mov_b32 v9, v51 :: v_dual_add_nc_u32 v8, 0x1c2, v50
	s_wait_alu 0xfffd
	v_add_co_ci_u32_e32 v11, vcc_lo, v33, v5, vcc_lo
	v_lshlrev_b64_e32 v[12:13], 3, v[6:7]
	ds_load_2addr_b64 v[4:7], v14 offset0:66 offset1:141
	v_dual_mov_b32 v19, v51 :: v_dual_add_nc_u32 v14, 0x20d, v50
	v_lshlrev_b64_e32 v[8:9], 3, v[8:9]
	v_add_nc_u32_e32 v16, 0x258, v50
	v_add_co_u32 v12, vcc_lo, v32, v12
	s_delay_alu instid0(VALU_DEP_4)
	v_lshlrev_b64_e32 v[14:15], 3, v[14:15]
	s_wait_alu 0xfffd
	v_add_co_ci_u32_e32 v13, vcc_lo, v33, v13, vcc_lo
	v_add_co_u32 v8, vcc_lo, v32, v8
	s_wait_alu 0xfffd
	v_add_co_ci_u32_e32 v9, vcc_lo, v33, v9, vcc_lo
	v_add_co_u32 v14, vcc_lo, v32, v14
	s_wait_alu 0xfffd
	v_add_co_ci_u32_e32 v15, vcc_lo, v33, v15, vcc_lo
	v_add_nc_u32_e32 v18, 0x2a3, v50
	s_wait_dscnt 0x1
	s_clause 0x1
	global_store_b64 v[10:11], v[0:1], off
	global_store_b64 v[12:13], v[2:3], off
	s_wait_dscnt 0x0
	s_clause 0x1
	global_store_b64 v[8:9], v[4:5], off
	global_store_b64 v[14:15], v[6:7], off
	v_mov_b32_e32 v13, v51
	v_mov_b32_e32 v9, v51
	v_lshlrev_b64_e32 v[4:5], 3, v[16:17]
	v_dual_mov_b32 v15, v51 :: v_dual_add_nc_u32 v8, 0x2ee, v50
	v_lshlrev_b64_e32 v[6:7], 3, v[18:19]
	v_dual_mov_b32 v11, v51 :: v_dual_add_nc_u32 v20, 0x1000, v28
	s_delay_alu instid0(VALU_DEP_4) | instskip(NEXT) | instid1(VALU_DEP_4)
	v_add_co_u32 v16, vcc_lo, v32, v4
	v_lshlrev_b64_e32 v[8:9], 3, v[8:9]
	s_wait_alu 0xfffd
	v_add_co_ci_u32_e32 v17, vcc_lo, v33, v5, vcc_lo
	v_add_co_u32 v18, vcc_lo, v32, v6
	v_add_nc_u32_e32 v10, 0x339, v50
	s_wait_alu 0xfffd
	v_add_co_ci_u32_e32 v19, vcc_lo, v33, v7, vcc_lo
	ds_load_2addr_b64 v[0:3], v20 offset0:88 offset1:163
	v_add_co_u32 v20, vcc_lo, v32, v8
	v_add_nc_u32_e32 v12, 0x384, v50
	s_wait_alu 0xfffd
	v_add_co_ci_u32_e32 v21, vcc_lo, v33, v9, vcc_lo
	v_lshlrev_b64_e32 v[8:9], 3, v[10:11]
	v_add_nc_u32_e32 v14, 0x3cf, v50
	v_dual_mov_b32 v27, v51 :: v_dual_add_nc_u32 v4, 0x1400, v28
	v_lshlrev_b64_e32 v[12:13], 3, v[12:13]
	v_add_nc_u32_e32 v10, 0x1800, v28
	v_add_co_u32 v22, vcc_lo, v32, v8
	v_lshlrev_b64_e32 v[24:25], 3, v[14:15]
	v_add_nc_u32_e32 v14, 0x2000, v28
	ds_load_2addr_b64 v[4:7], v4 offset0:110 offset1:185
	s_wait_alu 0xfffd
	v_add_co_ci_u32_e32 v23, vcc_lo, v33, v9, vcc_lo
	ds_load_2addr_b64 v[8:11], v10 offset0:132 offset1:207
	v_add_nc_u32_e32 v26, 0x41a, v50
	v_add_co_u32 v28, vcc_lo, v32, v12
	s_wait_alu 0xfffd
	v_add_co_ci_u32_e32 v29, vcc_lo, v33, v13, vcc_lo
	ds_load_2addr_b64 v[12:15], v14 offset0:26 offset1:101
	v_add_nc_u32_e32 v50, 0x465, v50
	v_lshlrev_b64_e32 v[26:27], 3, v[26:27]
	v_add_co_u32 v24, vcc_lo, v32, v24
	s_wait_alu 0xfffd
	v_add_co_ci_u32_e32 v25, vcc_lo, v33, v25, vcc_lo
	v_lshlrev_b64_e32 v[30:31], 3, v[50:51]
	s_delay_alu instid0(VALU_DEP_4) | instskip(SKIP_2) | instid1(VALU_DEP_3)
	v_add_co_u32 v26, vcc_lo, v32, v26
	s_wait_alu 0xfffd
	v_add_co_ci_u32_e32 v27, vcc_lo, v33, v27, vcc_lo
	v_add_co_u32 v30, vcc_lo, v32, v30
	s_wait_alu 0xfffd
	v_add_co_ci_u32_e32 v31, vcc_lo, v33, v31, vcc_lo
	s_wait_dscnt 0x3
	s_clause 0x1
	global_store_b64 v[16:17], v[0:1], off
	global_store_b64 v[18:19], v[2:3], off
	s_wait_dscnt 0x2
	s_clause 0x1
	global_store_b64 v[20:21], v[4:5], off
	global_store_b64 v[22:23], v[6:7], off
	;; [unrolled: 4-line block ×4, first 2 shown]
.LBB0_28:
	s_nop 0
	s_sendmsg sendmsg(MSG_DEALLOC_VGPRS)
	s_endpgm
	.section	.rodata,"a",@progbits
	.p2align	6, 0x0
	.amdhsa_kernel fft_rtc_back_len1200_factors_5_5_16_3_wgs_225_tpt_75_halfLds_sp_ip_CI_unitstride_sbrr_C2R_dirReg
		.amdhsa_group_segment_fixed_size 0
		.amdhsa_private_segment_fixed_size 0
		.amdhsa_kernarg_size 88
		.amdhsa_user_sgpr_count 2
		.amdhsa_user_sgpr_dispatch_ptr 0
		.amdhsa_user_sgpr_queue_ptr 0
		.amdhsa_user_sgpr_kernarg_segment_ptr 1
		.amdhsa_user_sgpr_dispatch_id 0
		.amdhsa_user_sgpr_private_segment_size 0
		.amdhsa_wavefront_size32 1
		.amdhsa_uses_dynamic_stack 0
		.amdhsa_enable_private_segment 0
		.amdhsa_system_sgpr_workgroup_id_x 1
		.amdhsa_system_sgpr_workgroup_id_y 0
		.amdhsa_system_sgpr_workgroup_id_z 0
		.amdhsa_system_sgpr_workgroup_info 0
		.amdhsa_system_vgpr_workitem_id 0
		.amdhsa_next_free_vgpr 104
		.amdhsa_next_free_sgpr 32
		.amdhsa_reserve_vcc 1
		.amdhsa_float_round_mode_32 0
		.amdhsa_float_round_mode_16_64 0
		.amdhsa_float_denorm_mode_32 3
		.amdhsa_float_denorm_mode_16_64 3
		.amdhsa_fp16_overflow 0
		.amdhsa_workgroup_processor_mode 1
		.amdhsa_memory_ordered 1
		.amdhsa_forward_progress 0
		.amdhsa_round_robin_scheduling 0
		.amdhsa_exception_fp_ieee_invalid_op 0
		.amdhsa_exception_fp_denorm_src 0
		.amdhsa_exception_fp_ieee_div_zero 0
		.amdhsa_exception_fp_ieee_overflow 0
		.amdhsa_exception_fp_ieee_underflow 0
		.amdhsa_exception_fp_ieee_inexact 0
		.amdhsa_exception_int_div_zero 0
	.end_amdhsa_kernel
	.text
.Lfunc_end0:
	.size	fft_rtc_back_len1200_factors_5_5_16_3_wgs_225_tpt_75_halfLds_sp_ip_CI_unitstride_sbrr_C2R_dirReg, .Lfunc_end0-fft_rtc_back_len1200_factors_5_5_16_3_wgs_225_tpt_75_halfLds_sp_ip_CI_unitstride_sbrr_C2R_dirReg
                                        ; -- End function
	.section	.AMDGPU.csdata,"",@progbits
; Kernel info:
; codeLenInByte = 11476
; NumSgprs: 34
; NumVgprs: 104
; ScratchSize: 0
; MemoryBound: 0
; FloatMode: 240
; IeeeMode: 1
; LDSByteSize: 0 bytes/workgroup (compile time only)
; SGPRBlocks: 4
; VGPRBlocks: 12
; NumSGPRsForWavesPerEU: 34
; NumVGPRsForWavesPerEU: 104
; Occupancy: 12
; WaveLimiterHint : 1
; COMPUTE_PGM_RSRC2:SCRATCH_EN: 0
; COMPUTE_PGM_RSRC2:USER_SGPR: 2
; COMPUTE_PGM_RSRC2:TRAP_HANDLER: 0
; COMPUTE_PGM_RSRC2:TGID_X_EN: 1
; COMPUTE_PGM_RSRC2:TGID_Y_EN: 0
; COMPUTE_PGM_RSRC2:TGID_Z_EN: 0
; COMPUTE_PGM_RSRC2:TIDIG_COMP_CNT: 0
	.text
	.p2alignl 7, 3214868480
	.fill 96, 4, 3214868480
	.type	__hip_cuid_e2798e89dc68e1ce,@object ; @__hip_cuid_e2798e89dc68e1ce
	.section	.bss,"aw",@nobits
	.globl	__hip_cuid_e2798e89dc68e1ce
__hip_cuid_e2798e89dc68e1ce:
	.byte	0                               ; 0x0
	.size	__hip_cuid_e2798e89dc68e1ce, 1

	.ident	"AMD clang version 19.0.0git (https://github.com/RadeonOpenCompute/llvm-project roc-6.4.0 25133 c7fe45cf4b819c5991fe208aaa96edf142730f1d)"
	.section	".note.GNU-stack","",@progbits
	.addrsig
	.addrsig_sym __hip_cuid_e2798e89dc68e1ce
	.amdgpu_metadata
---
amdhsa.kernels:
  - .args:
      - .actual_access:  read_only
        .address_space:  global
        .offset:         0
        .size:           8
        .value_kind:     global_buffer
      - .offset:         8
        .size:           8
        .value_kind:     by_value
      - .actual_access:  read_only
        .address_space:  global
        .offset:         16
        .size:           8
        .value_kind:     global_buffer
      - .actual_access:  read_only
        .address_space:  global
        .offset:         24
        .size:           8
        .value_kind:     global_buffer
      - .offset:         32
        .size:           8
        .value_kind:     by_value
      - .actual_access:  read_only
        .address_space:  global
        .offset:         40
        .size:           8
        .value_kind:     global_buffer
      - .actual_access:  read_only
        .address_space:  global
        .offset:         48
        .size:           8
        .value_kind:     global_buffer
      - .offset:         56
        .size:           4
        .value_kind:     by_value
      - .actual_access:  read_only
        .address_space:  global
        .offset:         64
        .size:           8
        .value_kind:     global_buffer
      - .actual_access:  read_only
        .address_space:  global
        .offset:         72
        .size:           8
        .value_kind:     global_buffer
      - .address_space:  global
        .offset:         80
        .size:           8
        .value_kind:     global_buffer
    .group_segment_fixed_size: 0
    .kernarg_segment_align: 8
    .kernarg_segment_size: 88
    .language:       OpenCL C
    .language_version:
      - 2
      - 0
    .max_flat_workgroup_size: 225
    .name:           fft_rtc_back_len1200_factors_5_5_16_3_wgs_225_tpt_75_halfLds_sp_ip_CI_unitstride_sbrr_C2R_dirReg
    .private_segment_fixed_size: 0
    .sgpr_count:     34
    .sgpr_spill_count: 0
    .symbol:         fft_rtc_back_len1200_factors_5_5_16_3_wgs_225_tpt_75_halfLds_sp_ip_CI_unitstride_sbrr_C2R_dirReg.kd
    .uniform_work_group_size: 1
    .uses_dynamic_stack: false
    .vgpr_count:     104
    .vgpr_spill_count: 0
    .wavefront_size: 32
    .workgroup_processor_mode: 1
amdhsa.target:   amdgcn-amd-amdhsa--gfx1201
amdhsa.version:
  - 1
  - 2
...

	.end_amdgpu_metadata
